;; amdgpu-corpus repo=ROCm/rocFFT kind=compiled arch=gfx1201 opt=O3
	.text
	.amdgcn_target "amdgcn-amd-amdhsa--gfx1201"
	.amdhsa_code_object_version 6
	.protected	bluestein_single_back_len540_dim1_half_op_CI_CI ; -- Begin function bluestein_single_back_len540_dim1_half_op_CI_CI
	.globl	bluestein_single_back_len540_dim1_half_op_CI_CI
	.p2align	8
	.type	bluestein_single_back_len540_dim1_half_op_CI_CI,@function
bluestein_single_back_len540_dim1_half_op_CI_CI: ; @bluestein_single_back_len540_dim1_half_op_CI_CI
; %bb.0:
	s_load_b128 s[8:11], s[0:1], 0x28
	v_mul_u32_u24_e32 v1, 0x4be, v0
	v_mov_b32_e32 v19, 0
	s_mov_b32 s2, exec_lo
	s_delay_alu instid0(VALU_DEP_2) | instskip(NEXT) | instid1(VALU_DEP_1)
	v_lshrrev_b32_e32 v2, 16, v1
	v_lshl_add_u32 v18, ttmp9, 2, v2
	s_wait_kmcnt 0x0
	s_delay_alu instid0(VALU_DEP_1)
	v_cmpx_gt_u64_e64 s[8:9], v[18:19]
	s_cbranch_execz .LBB0_31
; %bb.1:
	s_clause 0x1
	s_load_b128 s[4:7], s[0:1], 0x18
	s_load_b64 s[16:17], s[0:1], 0x0
	v_mul_lo_u16 v1, v2, 54
	s_movk_i32 s2, 0xfece
	s_mov_b32 s3, -1
	s_delay_alu instid0(VALU_DEP_1) | instskip(NEXT) | instid1(VALU_DEP_1)
	v_sub_nc_u16 v8, v0, v1
	v_and_b32_e32 v53, 0xffff, v8
	s_wait_kmcnt 0x0
	s_load_b128 s[12:15], s[4:5], 0x0
	s_wait_kmcnt 0x0
	v_mad_co_u64_u32 v[0:1], null, s14, v18, 0
	v_mad_co_u64_u32 v[3:4], null, s12, v53, 0
	s_mul_u64 s[4:5], s[12:13], 0xb4
	s_mul_u64 s[2:3], s[12:13], s[2:3]
	s_delay_alu instid0(SALU_CYCLE_1) | instskip(NEXT) | instid1(VALU_DEP_2)
	s_lshl_b64 s[2:3], s[2:3], 2
	v_mad_co_u64_u32 v[5:6], null, s15, v18, v[1:2]
	v_and_b32_e32 v2, 3, v2
	s_delay_alu instid0(VALU_DEP_1) | instskip(NEXT) | instid1(VALU_DEP_3)
	v_mul_u32_u24_e32 v38, 0x21c, v2
	v_mad_co_u64_u32 v[6:7], null, s13, v53, v[4:5]
	s_delay_alu instid0(VALU_DEP_2) | instskip(NEXT) | instid1(VALU_DEP_1)
	v_dual_mov_b32 v1, v5 :: v_dual_lshlrev_b32 v60, 2, v38
	v_lshlrev_b64_e32 v[0:1], 2, v[0:1]
	s_delay_alu instid0(VALU_DEP_3)
	v_dual_mov_b32 v4, v6 :: v_dual_lshlrev_b32 v37, 2, v53
	s_clause 0x2
	global_load_b32 v55, v37, s[16:17]
	global_load_b32 v51, v37, s[16:17] offset:216
	global_load_b32 v49, v37, s[16:17] offset:936
	v_lshlrev_b64_e32 v[3:4], 2, v[3:4]
	v_add_co_u32 v0, vcc_lo, s10, v0
	v_add_co_ci_u32_e32 v1, vcc_lo, s11, v1, vcc_lo
	s_lshl_b64 s[10:11], s[4:5], 2
	s_delay_alu instid0(VALU_DEP_2) | instskip(SKIP_1) | instid1(VALU_DEP_2)
	v_add_co_u32 v0, vcc_lo, v0, v3
	s_wait_alu 0xfffd
	v_add_co_ci_u32_e32 v1, vcc_lo, v1, v4, vcc_lo
	s_clause 0x5
	global_load_b32 v47, v37, s[16:17] offset:1656
	global_load_b32 v54, v37, s[16:17] offset:1440
	;; [unrolled: 1-line block ×6, first 2 shown]
	global_load_b32 v7, v[0:1], off
	s_wait_alu 0xfffe
	v_add_co_u32 v0, vcc_lo, v0, s10
	s_wait_alu 0xfffd
	v_add_co_ci_u32_e32 v1, vcc_lo, s11, v1, vcc_lo
	v_add_nc_u32_e32 v40, v60, v37
	s_delay_alu instid0(VALU_DEP_3) | instskip(SKIP_1) | instid1(VALU_DEP_3)
	v_add_co_u32 v3, vcc_lo, v0, s10
	s_wait_alu 0xfffd
	v_add_co_ci_u32_e32 v4, vcc_lo, s11, v1, vcc_lo
	global_load_b32 v9, v[0:1], off
	v_add_co_u32 v16, s12, s16, v37
	global_load_b32 v10, v[3:4], off
	v_add_co_u32 v0, vcc_lo, v3, s2
	s_wait_alu 0xfffd
	v_add_co_ci_u32_e32 v1, vcc_lo, s3, v4, vcc_lo
	s_wait_alu 0xf1ff
	v_add_co_ci_u32_e64 v17, null, s17, 0, s12
	v_add_co_u32 v3, vcc_lo, v0, s10
	s_wait_alu 0xfffd
	v_add_co_ci_u32_e32 v4, vcc_lo, s11, v1, vcc_lo
	s_clause 0x1
	global_load_b32 v11, v[0:1], off
	global_load_b32 v12, v[3:4], off
	v_add_co_u32 v0, vcc_lo, v3, s10
	s_wait_alu 0xfffd
	v_add_co_ci_u32_e32 v1, vcc_lo, s11, v4, vcc_lo
	s_delay_alu instid0(VALU_DEP_2) | instskip(SKIP_1) | instid1(VALU_DEP_2)
	v_add_co_u32 v3, vcc_lo, v0, s2
	s_wait_alu 0xfffd
	v_add_co_ci_u32_e32 v4, vcc_lo, s3, v1, vcc_lo
	global_load_b32 v13, v[0:1], off
	v_add_co_u32 v5, vcc_lo, v3, s10
	s_wait_alu 0xfffd
	v_add_co_ci_u32_e32 v6, vcc_lo, s11, v4, vcc_lo
	global_load_b32 v3, v[3:4], off
	;; [unrolled: 4-line block ×3, first 2 shown]
	global_load_b32 v5, v[0:1], off
	s_load_b64 s[8:9], s[0:1], 0x38
	s_load_b128 s[4:7], s[6:7], 0x0
	v_add_nc_u32_e32 v6, 0x200, v40
	v_cmp_gt_u16_e32 vcc_lo, 18, v8
	s_wait_loadcnt 0x11
	v_lshrrev_b32_e32 v59, 16, v55
	s_wait_loadcnt 0x10
	v_lshrrev_b32_e32 v52, 16, v51
	;; [unrolled: 2-line block ×7, first 2 shown]
	v_lshrrev_b32_e32 v44, 16, v42
	s_wait_loadcnt 0x8
	v_lshrrev_b32_e32 v2, 16, v7
	v_mul_f16_e32 v14, v59, v7
	v_lshrrev_b32_e32 v43, 16, v41
	s_delay_alu instid0(VALU_DEP_3) | instskip(NEXT) | instid1(VALU_DEP_3)
	v_mul_f16_e32 v15, v59, v2
	v_fma_f16 v2, v55, v2, -v14
	s_wait_loadcnt 0x7
	v_lshrrev_b32_e32 v19, 16, v9
	v_mul_f16_e32 v20, v58, v9
	v_fmac_f16_e32 v15, v55, v7
	s_wait_loadcnt 0x6
	v_lshrrev_b32_e32 v14, 16, v10
	v_mul_f16_e32 v7, v58, v19
	v_fma_f16 v19, v56, v19, -v20
	v_mul_f16_e32 v20, v57, v10
	v_pack_b32_f16 v15, v15, v2
	v_mul_f16_e32 v2, v57, v14
	v_fmac_f16_e32 v7, v56, v9
	s_delay_alu instid0(VALU_DEP_4) | instskip(NEXT) | instid1(VALU_DEP_3)
	v_fma_f16 v14, v54, v14, -v20
	v_fmac_f16_e32 v2, v54, v10
	s_wait_loadcnt 0x5
	v_lshrrev_b32_e32 v9, 16, v11
	v_pack_b32_f16 v7, v7, v19
	s_wait_loadcnt 0x4
	v_lshrrev_b32_e32 v19, 16, v12
	v_mul_f16_e32 v21, v50, v12
	v_mul_f16_e32 v20, v52, v11
	;; [unrolled: 1-line block ×3, first 2 shown]
	v_pack_b32_f16 v2, v2, v14
	ds_store_b32 v40, v7 offset:720
	ds_store_b32 v40, v2 offset:1440
	v_fmac_f16_e32 v10, v51, v11
	v_mul_f16_e32 v11, v50, v19
	v_fma_f16 v14, v49, v19, -v21
	s_wait_loadcnt 0x3
	v_lshrrev_b32_e32 v19, 16, v13
	v_fma_f16 v9, v51, v9, -v20
	v_mul_f16_e32 v20, v48, v13
	v_fmac_f16_e32 v11, v49, v12
	s_wait_loadcnt 0x2
	v_mul_f16_e32 v12, v46, v3
	v_mul_f16_e32 v2, v48, v19
	v_pack_b32_f16 v7, v10, v9
	v_lshrrev_b32_e32 v9, 16, v3
	v_fma_f16 v10, v47, v19, -v20
	s_wait_loadcnt 0x0
	v_lshrrev_b32_e32 v20, 16, v5
	v_fmac_f16_e32 v2, v47, v13
	v_lshrrev_b32_e32 v13, 16, v4
	v_mul_f16_e32 v19, v46, v9
	v_fma_f16 v9, v45, v9, -v12
	v_mul_f16_e32 v12, v44, v4
	v_mul_f16_e32 v22, v43, v5
	;; [unrolled: 1-line block ×4, first 2 shown]
	v_fmac_f16_e32 v19, v45, v3
	v_fma_f16 v3, v42, v13, -v12
	v_pack_b32_f16 v10, v2, v10
	v_fmac_f16_e32 v21, v42, v4
	v_fma_f16 v4, v41, v20, -v22
	v_fmac_f16_e32 v23, v41, v5
	v_add_nc_u32_e32 v2, 0x400, v40
	v_pack_b32_f16 v9, v19, v9
	v_pack_b32_f16 v5, v11, v14
	v_pack_b32_f16 v3, v21, v3
	v_pack_b32_f16 v4, v23, v4
	ds_store_2addr_b32 v40, v15, v7 offset1:54
	ds_store_b32 v40, v9 offset:432
	ds_store_2addr_b32 v6, v5, v3 offset0:106 offset1:160
	ds_store_2addr_b32 v2, v10, v4 offset0:158 offset1:212
	s_and_saveexec_b32 s12, vcc_lo
	s_cbranch_execz .LBB0_3
; %bb.2:
	v_add_co_u32 v0, s2, v0, s2
	s_wait_alu 0xf1ff
	v_add_co_ci_u32_e64 v1, s2, s3, v1, s2
	global_load_b32 v5, v[16:17], off offset:648
	v_add_co_u32 v3, s2, v0, s10
	s_wait_alu 0xf1ff
	v_add_co_ci_u32_e64 v4, s2, s11, v1, s2
	s_delay_alu instid0(VALU_DEP_2) | instskip(SKIP_1) | instid1(VALU_DEP_2)
	v_add_co_u32 v7, s2, v3, s10
	s_wait_alu 0xf1ff
	v_add_co_ci_u32_e64 v8, s2, s11, v4, s2
	global_load_b32 v9, v[16:17], off offset:1368
	global_load_b32 v0, v[0:1], off
	global_load_b32 v1, v[16:17], off offset:2088
	global_load_b32 v3, v[3:4], off
	global_load_b32 v4, v[7:8], off
	s_wait_loadcnt 0x5
	v_lshrrev_b32_e32 v7, 16, v5
	s_wait_loadcnt 0x4
	v_lshrrev_b32_e32 v8, 16, v9
	;; [unrolled: 2-line block ×3, first 2 shown]
	v_mul_f16_e32 v11, v7, v0
	s_wait_loadcnt 0x1
	v_lshrrev_b32_e32 v13, 16, v3
	v_lshrrev_b32_e32 v12, 16, v1
	s_wait_loadcnt 0x0
	v_lshrrev_b32_e32 v14, 16, v4
	v_mul_f16_e32 v7, v7, v10
	v_fma_f16 v10, v5, v10, -v11
	v_mul_f16_e32 v11, v8, v3
	v_mul_f16_e32 v8, v8, v13
	;; [unrolled: 1-line block ×4, first 2 shown]
	v_fmac_f16_e32 v7, v5, v0
	v_fma_f16 v0, v9, v13, -v11
	v_fmac_f16_e32 v8, v9, v3
	v_fmac_f16_e32 v15, v1, v4
	v_fma_f16 v1, v1, v14, -v12
	v_pack_b32_f16 v3, v7, v10
	s_delay_alu instid0(VALU_DEP_4) | instskip(NEXT) | instid1(VALU_DEP_3)
	v_pack_b32_f16 v0, v8, v0
	v_pack_b32_f16 v1, v15, v1
	ds_store_2addr_b32 v6, v3, v0 offset0:34 offset1:214
	ds_store_b32 v40, v1 offset:2088
.LBB0_3:
	s_wait_alu 0xfffe
	s_or_b32 exec_lo, exec_lo, s12
	global_wb scope:SCOPE_SE
	s_wait_dscnt 0x0
	s_wait_kmcnt 0x0
	s_barrier_signal -1
	s_barrier_wait -1
	global_inv scope:SCOPE_SE
	ds_load_2addr_b32 v[8:9], v40 offset1:54
	ds_load_2addr_b32 v[4:5], v40 offset0:108 offset1:180
	ds_load_2addr_b32 v[2:3], v2 offset0:104 offset1:158
	ds_load_2addr_b32 v[6:7], v6 offset0:106 offset1:160
	ds_load_b32 v11, v40 offset:1872
                                        ; implicit-def: $vgpr0
                                        ; implicit-def: $vgpr10
	s_and_saveexec_b32 s2, vcc_lo
	s_cbranch_execz .LBB0_5
; %bb.4:
	v_add_nc_u32_e32 v0, 0x200, v40
	ds_load_2addr_b32 v[0:1], v0 offset0:34 offset1:214
	ds_load_b32 v10, v40 offset:2088
.LBB0_5:
	s_wait_alu 0xfffe
	s_or_b32 exec_lo, exec_lo, s2
	s_wait_dscnt 0x0
	v_pk_add_f16 v12, v1, v10
	v_pk_add_f16 v13, v1, v10 neg_lo:[0,1] neg_hi:[0,1]
	v_pk_add_f16 v14, v8, v5
	s_load_b64 s[2:3], s[0:1], 0x8
	v_pk_add_f16 v15, v9, v6
	v_pk_fma_f16 v12, v12, 0.5, v0 op_sel_hi:[1,0,1] neg_lo:[1,0,0] neg_hi:[1,0,0]
	v_pk_mul_f16 v13, 0x3aee, v13 op_sel_hi:[0,1]
	v_pk_add_f16 v21, v4, v7
	v_add_co_u32 v93, null, v53, 54
	v_add_co_u32 v82, null, 0x6c, v53
	s_delay_alu instid0(VALU_DEP_4)
	v_pk_add_f16 v19, v12, v13 op_sel:[0,1] op_sel_hi:[1,0]
	v_pk_add_f16 v20, v12, v13 op_sel:[0,1] op_sel_hi:[1,0] neg_lo:[0,1] neg_hi:[0,1]
	v_pk_add_f16 v12, v5, v2
	v_pk_add_f16 v5, v5, v2 neg_lo:[0,1] neg_hi:[0,1]
	v_mul_lo_u16 v13, v53, 3
	v_pk_add_f16 v2, v14, v2
	global_wb scope:SCOPE_SE
	v_pk_fma_f16 v8, v12, 0.5, v8 op_sel_hi:[1,0,1] neg_lo:[1,0,0] neg_hi:[1,0,0]
	v_pk_mul_f16 v5, 0x3aee, v5 op_sel_hi:[0,1]
	v_and_b32_e32 v12, 0xffff, v13
	s_wait_kmcnt 0x0
	s_barrier_signal -1
	s_barrier_wait -1
	global_inv scope:SCOPE_SE
	v_pk_add_f16 v13, v8, v5 op_sel:[0,1] op_sel_hi:[1,0]
	v_pk_add_f16 v5, v8, v5 op_sel:[0,1] op_sel_hi:[1,0] neg_lo:[0,1] neg_hi:[0,1]
	v_pk_add_f16 v8, v6, v3
	v_pk_add_f16 v6, v6, v3 neg_lo:[0,1] neg_hi:[0,1]
	v_lshl_add_u32 v65, v12, 2, v60
	v_add_co_u32 v39, s0, 0xa2, v53
	v_bfi_b32 v12, 0xffff, v13, v5
	v_pk_fma_f16 v8, v8, 0.5, v9 op_sel_hi:[1,0,1] neg_lo:[1,0,0] neg_hi:[1,0,0]
	v_pk_add_f16 v9, v7, v11
	v_pk_add_f16 v7, v7, v11 neg_lo:[0,1] neg_hi:[0,1]
	v_bfi_b32 v5, 0xffff, v5, v13
	v_pk_mul_f16 v6, 0x3aee, v6 op_sel_hi:[0,1]
	ds_store_2addr_b32 v65, v2, v12 offset1:1
	ds_store_b32 v65, v5 offset:8
	v_pk_fma_f16 v2, v9, 0.5, v4 op_sel_hi:[1,0,1] neg_lo:[1,0,0] neg_hi:[1,0,0]
	v_pk_mul_f16 v4, 0x3aee, v7 op_sel_hi:[0,1]
	v_mul_u32_u24_e32 v13, 3, v93
	v_pk_add_f16 v5, v8, v6 op_sel:[0,1] op_sel_hi:[1,0]
	v_pk_add_f16 v6, v8, v6 op_sel:[0,1] op_sel_hi:[1,0] neg_lo:[0,1] neg_hi:[0,1]
	v_mul_u32_u24_e32 v7, 3, v82
	v_pk_add_f16 v8, v2, v4 op_sel:[0,1] op_sel_hi:[1,0]
	v_pk_add_f16 v2, v2, v4 op_sel:[0,1] op_sel_hi:[1,0] neg_lo:[0,1] neg_hi:[0,1]
	s_wait_alu 0xf1ff
	v_add_co_ci_u32_e64 v81, null, 0, 0, s0
	v_lshrrev_b32_e32 v31, 16, v19
	v_lshl_add_u32 v66, v13, 2, v60
	v_pk_add_f16 v3, v15, v3
	v_bfi_b32 v4, 0xffff, v5, v6
	v_lshl_add_u32 v68, v7, 2, v60
	v_mul_u32_u24_e32 v67, 3, v39
	v_bfi_b32 v5, 0xffff, v6, v5
	v_pk_add_f16 v6, v21, v11
	v_bfi_b32 v7, 0xffff, v8, v2
	v_bfi_b32 v2, 0xffff, v2, v8
	ds_store_2addr_b32 v66, v3, v4 offset1:1
	ds_store_b32 v66, v5 offset:8
	ds_store_2addr_b32 v68, v6, v7 offset1:1
	ds_store_b32 v68, v2 offset:8
	s_and_saveexec_b32 s0, vcc_lo
	s_cbranch_execz .LBB0_7
; %bb.6:
	v_pk_add_f16 v0, v0, v1
	v_lshl_add_u32 v1, v67, 2, v60
	v_bfi_b32 v2, 0xffff, v19, v20
	v_perm_b32 v3, v31, v20, 0x5040100
	s_delay_alu instid0(VALU_DEP_4)
	v_pk_add_f16 v0, v0, v10
	ds_store_b32 v1, v0
	ds_store_2addr_b32 v1, v2, v3 offset0:1 offset1:2
.LBB0_7:
	s_wait_alu 0xfffe
	s_or_b32 exec_lo, exec_lo, s0
	v_and_b32_e32 v0, 0xff, v53
	global_wb scope:SCOPE_SE
	s_wait_dscnt 0x0
	s_barrier_signal -1
	s_barrier_wait -1
	global_inv scope:SCOPE_SE
	v_mul_lo_u16 v0, 0xab, v0
	v_cmp_gt_u16_e64 s0, 36, v53
	s_delay_alu instid0(VALU_DEP_2) | instskip(NEXT) | instid1(VALU_DEP_1)
	v_lshrrev_b16 v25, 9, v0
	v_mul_lo_u16 v0, v25, 3
	v_and_b32_e32 v25, 0xffff, v25
	s_delay_alu instid0(VALU_DEP_2) | instskip(NEXT) | instid1(VALU_DEP_2)
	v_sub_nc_u16 v0, v53, v0
	v_mul_u32_u24_e32 v25, 30, v25
	s_delay_alu instid0(VALU_DEP_2) | instskip(NEXT) | instid1(VALU_DEP_1)
	v_and_b32_e32 v26, 0xff, v0
	v_mad_co_u64_u32 v[8:9], null, v26, 36, s[2:3]
	s_delay_alu instid0(VALU_DEP_3)
	v_add_nc_u32_e32 v25, v25, v26
	s_clause 0x2
	global_load_b128 v[4:7], v[8:9], off
	global_load_b128 v[0:3], v[8:9], off offset:16
	global_load_b32 v64, v[8:9], off offset:32
	v_add_nc_u32_e32 v9, 0x200, v40
	v_add_nc_u32_e32 v8, 0x400, v40
	ds_load_2addr_b32 v[10:11], v40 offset1:54
	ds_load_2addr_b32 v[12:13], v40 offset0:108 offset1:162
	ds_load_2addr_b32 v[14:15], v9 offset0:88 offset1:142
	;; [unrolled: 1-line block ×4, first 2 shown]
	v_lshl_add_u32 v62, v25, 2, v60
	global_wb scope:SCOPE_SE
	s_wait_loadcnt_dscnt 0x0
	s_barrier_signal -1
	s_barrier_wait -1
	global_inv scope:SCOPE_SE
	v_lshrrev_b32_e32 v28, 16, v11
	v_lshrrev_b32_e32 v29, 16, v12
	;; [unrolled: 1-line block ×19, first 2 shown]
	v_mul_f16_e32 v25, v28, v79
	v_mul_f16_e32 v61, v11, v79
	;; [unrolled: 1-line block ×18, first 2 shown]
	v_fma_f16 v11, v11, v4, -v25
	v_fmac_f16_e32 v61, v28, v4
	v_fma_f16 v12, v12, v5, -v63
	v_fmac_f16_e32 v69, v29, v5
	;; [unrolled: 2-line block ×9, first 2 shown]
	v_add_f16_e32 v25, v10, v12
	v_add_f16_e32 v26, v14, v21
	v_sub_f16_e32 v30, v12, v14
	v_sub_f16_e32 v32, v23, v21
	v_add_f16_e32 v33, v12, v23
	v_add_f16_e32 v36, v27, v69
	v_sub_f16_e32 v83, v69, v84
	v_sub_f16_e32 v85, v92, v88
	v_add_f16_e32 v91, v11, v13
	v_add_f16_e32 v94, v15, v22
	;; [unrolled: 1-line block ×6, first 2 shown]
	v_sub_f16_e32 v28, v69, v92
	v_sub_f16_e32 v29, v84, v88
	;; [unrolled: 1-line block ×4, first 2 shown]
	v_add_f16_e32 v63, v84, v88
	v_sub_f16_e32 v70, v14, v21
	v_add_f16_e32 v87, v69, v92
	v_sub_f16_e32 v69, v84, v69
	v_sub_f16_e32 v96, v71, v95
	;; [unrolled: 1-line block ×6, first 2 shown]
	v_add_f16_e32 v14, v25, v14
	v_fma_f16 v26, -0.5, v26, v10
	v_add_f16_e32 v25, v30, v32
	v_fmac_f16_e32 v10, -0.5, v33
	v_add_f16_e32 v32, v36, v84
	v_add_f16_e32 v33, v83, v85
	;; [unrolled: 1-line block ×3, first 2 shown]
	v_fma_f16 v36, -0.5, v94, v11
	v_add_f16_e32 v83, v103, v86
	v_fma_f16 v84, -0.5, v104, v61
	v_sub_f16_e32 v89, v88, v92
	v_sub_f16_e32 v97, v86, v90
	v_fmac_f16_e32 v11, -0.5, v100
	v_fmac_f16_e32 v61, -0.5, v108
	v_sub_f16_e32 v99, v24, v22
	v_sub_f16_e32 v102, v22, v24
	;; [unrolled: 1-line block ×5, first 2 shown]
	v_add_f16_e32 v30, v34, v35
	v_fma_f16 v35, -0.5, v63, v27
	v_fmac_f16_e32 v27, -0.5, v87
	v_add_f16_e32 v15, v15, v22
	v_fmamk_f16 v22, v96, 0x3b9c, v36
	v_add_f16_e32 v83, v83, v90
	v_fmamk_f16 v90, v13, 0xbb9c, v84
	v_sub_f16_e32 v71, v86, v71
	v_add_f16_e32 v34, v69, v89
	v_fmamk_f16 v89, v97, 0xbb9c, v11
	v_fmac_f16_e32 v11, 0x3b9c, v97
	v_fmamk_f16 v91, v105, 0x3b9c, v61
	v_fmac_f16_e32 v61, 0xbb9c, v105
	v_sub_f16_e32 v12, v12, v23
	v_fmac_f16_e32 v36, 0xbb9c, v96
	v_fmac_f16_e32 v84, 0x3b9c, v13
	v_add_f16_e32 v63, v98, v99
	v_add_f16_e32 v85, v106, v107
	;; [unrolled: 1-line block ×4, first 2 shown]
	v_fmamk_f16 v88, v70, 0x3b9c, v27
	v_fmac_f16_e32 v27, 0xbb9c, v70
	v_fmac_f16_e32 v22, 0x38b4, v97
	;; [unrolled: 1-line block ×3, first 2 shown]
	v_add_f16_e32 v69, v101, v102
	v_add_f16_e32 v71, v71, v109
	v_fmamk_f16 v21, v28, 0x3b9c, v26
	v_fmac_f16_e32 v26, 0xbb9c, v28
	v_fmamk_f16 v86, v29, 0xbb9c, v10
	v_fmac_f16_e32 v10, 0x3b9c, v29
	v_fmac_f16_e32 v89, 0x38b4, v96
	;; [unrolled: 1-line block ×5, first 2 shown]
	v_fmamk_f16 v87, v12, 0xbb9c, v35
	v_fmac_f16_e32 v35, 0x3b9c, v12
	v_fmac_f16_e32 v36, 0xb8b4, v97
	;; [unrolled: 1-line block ×3, first 2 shown]
	v_add_f16_e32 v14, v14, v23
	v_add_f16_e32 v23, v32, v92
	v_fmac_f16_e32 v88, 0xb8b4, v12
	v_fmac_f16_e32 v27, 0x38b4, v12
	v_add_f16_e32 v12, v15, v24
	v_add_f16_e32 v15, v83, v95
	v_fmac_f16_e32 v22, 0x34f2, v63
	v_fmac_f16_e32 v90, 0x34f2, v85
	;; [unrolled: 1-line block ×14, first 2 shown]
	v_add_f16_e32 v13, v14, v12
	v_add_f16_e32 v24, v23, v15
	v_sub_f16_e32 v12, v14, v12
	v_sub_f16_e32 v14, v23, v15
	v_mul_f16_e32 v15, 0x38b4, v90
	v_mul_f16_e32 v29, 0xb8b4, v22
	v_fmac_f16_e32 v21, 0x34f2, v25
	v_fmac_f16_e32 v26, 0x34f2, v25
	;; [unrolled: 1-line block ×4, first 2 shown]
	v_mul_f16_e32 v23, 0x3b9c, v91
	v_mul_f16_e32 v25, 0x34f2, v11
	;; [unrolled: 1-line block ×4, first 2 shown]
	v_fmac_f16_e32 v87, 0x34f2, v33
	v_fmac_f16_e32 v35, 0x34f2, v33
	v_mul_f16_e32 v28, 0x3a79, v36
	v_mul_f16_e32 v33, 0x3a79, v84
	v_fmac_f16_e32 v15, 0x3a79, v22
	v_fmac_f16_e32 v29, 0x3a79, v90
	;; [unrolled: 1-line block ×4, first 2 shown]
	v_pack_b32_f16 v12, v12, v14
	v_fmac_f16_e32 v23, 0x34f2, v89
	v_fma_f16 v14, v61, 0x3b9c, -v25
	v_fmac_f16_e32 v30, 0x34f2, v91
	v_fma_f16 v11, v11, 0xbb9c, -v32
	v_pack_b32_f16 v13, v13, v24
	v_fma_f16 v24, v84, 0x38b4, -v28
	v_fma_f16 v28, v36, 0xb8b4, -v33
	v_add_f16_e32 v36, v21, v15
	v_add_f16_e32 v70, v87, v29
	;; [unrolled: 1-line block ×8, first 2 shown]
	v_sub_f16_e32 v21, v21, v15
	v_sub_f16_e32 v22, v86, v23
	;; [unrolled: 1-line block ×8, first 2 shown]
	v_pack_b32_f16 v10, v36, v70
	v_pack_b32_f16 v11, v61, v71
	;; [unrolled: 1-line block ×8, first 2 shown]
	ds_store_2addr_b32 v62, v13, v10 offset1:3
	ds_store_2addr_b32 v62, v11, v14 offset0:6 offset1:9
	ds_store_2addr_b32 v62, v15, v12 offset0:12 offset1:15
	;; [unrolled: 1-line block ×4, first 2 shown]
	global_wb scope:SCOPE_SE
	s_wait_dscnt 0x0
	s_barrier_signal -1
	s_barrier_wait -1
	global_inv scope:SCOPE_SE
	ds_load_2addr_b32 v[23:24], v40 offset1:90
	ds_load_2addr_b32 v[29:30], v9 offset0:52 offset1:142
	ds_load_2addr_b32 v[27:28], v8 offset0:104 offset1:194
	v_lshrrev_b32_e32 v36, 16, v20
	s_and_saveexec_b32 s1, s0
	s_cbranch_execz .LBB0_9
; %bb.8:
	ds_load_2addr_b32 v[21:22], v40 offset0:54 offset1:144
	ds_load_2addr_b32 v[25:26], v9 offset0:106 offset1:196
	;; [unrolled: 1-line block ×3, first 2 shown]
	s_wait_dscnt 0x2
	v_lshrrev_b32_e32 v32, 16, v21
	v_lshrrev_b32_e32 v33, 16, v22
	s_wait_dscnt 0x1
	v_lshrrev_b32_e32 v34, 16, v25
	v_lshrrev_b32_e32 v35, 16, v26
	;; [unrolled: 3-line block ×3, first 2 shown]
.LBB0_9:
	s_wait_alu 0xfffe
	s_or_b32 exec_lo, exec_lo, s1
	v_subrev_nc_u32_e32 v8, 30, v53
	v_cmp_gt_u16_e64 s1, 30, v53
	v_and_b32_e32 v10, 0xff, v93
	s_wait_dscnt 0x2
	v_lshrrev_b32_e32 v84, 16, v24
	s_wait_dscnt 0x1
	v_lshrrev_b32_e32 v86, 16, v29
	v_lshrrev_b32_e32 v88, 16, v30
	s_wait_alu 0xf1ff
	v_cndmask_b32_e64 v83, v8, v53, s1
	v_mul_lo_u16 v10, 0x89, v10
	s_wait_dscnt 0x0
	v_lshrrev_b32_e32 v90, 16, v27
	v_lshrrev_b32_e32 v92, 16, v28
	;; [unrolled: 1-line block ×3, first 2 shown]
	v_mul_i32_i24_e32 v8, 20, v83
	v_mul_hi_i32_i24_e32 v9, 20, v83
	v_lshrrev_b16 v63, 12, v10
	s_delay_alu instid0(VALU_DEP_3) | instskip(SKIP_1) | instid1(VALU_DEP_3)
	v_add_co_u32 v8, s1, s2, v8
	s_wait_alu 0xf1ff
	v_add_co_ci_u32_e64 v9, s1, s3, v9, s1
	v_cmp_lt_u16_e64 s1, 29, v53
	s_clause 0x1
	global_load_b128 v[12:15], v[8:9], off offset:108
	global_load_b32 v71, v[8:9], off offset:124
	v_mul_lo_u16 v8, v63, 30
	s_delay_alu instid0(VALU_DEP_1) | instskip(NEXT) | instid1(VALU_DEP_1)
	v_sub_nc_u16 v8, v93, v8
	v_and_b32_e32 v61, 0xff, v8
	s_delay_alu instid0(VALU_DEP_1)
	v_mad_co_u64_u32 v[69:70], null, v61, 20, s[2:3]
	s_clause 0x1
	global_load_b128 v[8:11], v[69:70], off offset:108
	global_load_b32 v70, v[69:70], off offset:124
	s_wait_alu 0xf1ff
	v_cndmask_b32_e64 v69, 0, 0xb4, s1
	global_wb scope:SCOPE_SE
	s_wait_loadcnt 0x0
	s_barrier_signal -1
	s_barrier_wait -1
	global_inv scope:SCOPE_SE
	v_add_nc_u32_e32 v69, v83, v69
	s_delay_alu instid0(VALU_DEP_1)
	v_lshl_add_u32 v69, v69, 2, v60
	v_lshrrev_b32_e32 v91, 16, v12
	v_lshrrev_b32_e32 v89, 16, v13
	;; [unrolled: 1-line block ×5, first 2 shown]
	v_mul_f16_e32 v95, v84, v91
	v_mul_f16_e32 v96, v24, v91
	;; [unrolled: 1-line block ×10, first 2 shown]
	v_fma_f16 v24, v24, v12, -v95
	v_fmac_f16_e32 v96, v84, v12
	v_fma_f16 v29, v29, v13, -v97
	v_fmac_f16_e32 v98, v86, v13
	;; [unrolled: 2-line block ×5, first 2 shown]
	v_add_f16_e32 v95, v23, v29
	v_add_f16_e32 v97, v29, v27
	v_sub_f16_e32 v99, v98, v102
	v_add_f16_e32 v101, v94, v98
	v_add_f16_e32 v98, v98, v102
	;; [unrolled: 1-line block ×4, first 2 shown]
	v_sub_f16_e32 v106, v100, v104
	v_add_f16_e32 v107, v96, v100
	v_add_f16_e32 v100, v100, v104
	v_lshrrev_b32_e32 v92, 16, v8
	v_lshrrev_b32_e32 v90, 16, v9
	;; [unrolled: 1-line block ×5, first 2 shown]
	v_sub_f16_e32 v29, v29, v27
	v_sub_f16_e32 v30, v30, v28
	v_add_f16_e32 v27, v95, v27
	v_fmac_f16_e32 v23, -0.5, v97
	v_add_f16_e32 v95, v101, v102
	v_fmac_f16_e32 v94, -0.5, v98
	;; [unrolled: 2-line block ×4, first 2 shown]
	v_mul_f16_e32 v98, v33, v92
	v_mul_f16_e32 v101, v22, v92
	;; [unrolled: 1-line block ×10, first 2 shown]
	v_fmamk_f16 v110, v99, 0x3aee, v23
	v_fmac_f16_e32 v23, 0xbaee, v99
	v_fmamk_f16 v99, v29, 0xbaee, v94
	v_fmac_f16_e32 v94, 0x3aee, v29
	;; [unrolled: 2-line block ×4, first 2 shown]
	v_add_f16_e32 v30, v27, v28
	v_add_f16_e32 v111, v95, v97
	v_sub_f16_e32 v27, v27, v28
	v_sub_f16_e32 v28, v95, v97
	v_fma_f16 v95, v22, v8, -v98
	v_fmac_f16_e32 v101, v33, v8
	v_fma_f16 v22, v25, v9, -v100
	v_fmac_f16_e32 v102, v34, v9
	;; [unrolled: 2-line block ×5, first 2 shown]
	v_mul_f16_e32 v31, 0x3aee, v106
	v_mul_f16_e32 v33, -0.5, v24
	v_mul_f16_e32 v34, 0xbaee, v29
	v_mul_f16_e32 v35, -0.5, v96
	v_pack_b32_f16 v36, v30, v111
	v_pack_b32_f16 v97, v27, v28
	v_add_f16_e32 v27, v22, v19
	v_sub_f16_e32 v28, v102, v107
	v_add_f16_e32 v30, v32, v102
	v_add_f16_e32 v98, v102, v107
	;; [unrolled: 1-line block ×3, first 2 shown]
	v_sub_f16_e32 v103, v104, v109
	v_add_f16_e32 v105, v101, v104
	v_add_f16_e32 v104, v104, v109
	;; [unrolled: 1-line block ×3, first 2 shown]
	v_sub_f16_e32 v100, v22, v19
	v_add_f16_e32 v22, v95, v25
	v_sub_f16_e32 v108, v25, v26
	v_fmac_f16_e32 v31, 0.5, v29
	v_fmac_f16_e32 v33, 0x3aee, v96
	v_fmac_f16_e32 v34, 0.5, v106
	v_fmac_f16_e32 v35, 0xbaee, v24
	v_fmac_f16_e32 v21, -0.5, v27
	v_fmac_f16_e32 v95, -0.5, v102
	;; [unrolled: 1-line block ×3, first 2 shown]
	v_add_f16_e32 v19, v20, v19
	v_add_f16_e32 v20, v30, v107
	;; [unrolled: 1-line block ×7, first 2 shown]
	v_sub_f16_e32 v33, v23, v33
	v_sub_f16_e32 v35, v94, v35
	v_fmamk_f16 v23, v28, 0x3aee, v21
	v_fmac_f16_e32 v21, 0xbaee, v28
	v_fmamk_f16 v28, v103, 0x3aee, v95
	v_fmac_f16_e32 v95, 0xbaee, v103
	;; [unrolled: 2-line block ×3, first 2 shown]
	v_fmac_f16_e32 v32, -0.5, v98
	v_sub_f16_e32 v98, v110, v31
	v_sub_f16_e32 v34, v99, v34
	v_pack_b32_f16 v99, v26, v30
	v_pack_b32_f16 v96, v29, v96
	v_mul_f16_e32 v26, 0x3aee, v94
	v_mul_f16_e32 v29, -0.5, v95
	v_mul_f16_e32 v30, 0xbaee, v28
	v_mul_f16_e32 v31, -0.5, v101
	v_add_f16_e32 v24, v105, v109
	v_fmamk_f16 v25, v100, 0xbaee, v32
	v_fmac_f16_e32 v32, 0x3aee, v100
	v_fmac_f16_e32 v26, 0.5, v28
	v_fmac_f16_e32 v29, 0x3aee, v101
	v_fmac_f16_e32 v30, 0.5, v94
	v_fmac_f16_e32 v31, 0xbaee, v95
	v_sub_f16_e32 v27, v19, v22
	v_sub_f16_e32 v100, v20, v24
	;; [unrolled: 1-line block ×6, first 2 shown]
	v_pack_b32_f16 v34, v98, v34
	v_pack_b32_f16 v33, v33, v35
	ds_store_2addr_b32 v69, v36, v99 offset1:30
	ds_store_2addr_b32 v69, v96, v97 offset0:60 offset1:90
	ds_store_2addr_b32 v69, v34, v33 offset0:120 offset1:150
	s_and_saveexec_b32 s1, s0
	s_cbranch_execz .LBB0_11
; %bb.10:
	v_and_b32_e32 v33, 0xffff, v63
	v_add_f16_e32 v25, v25, v30
	v_add_f16_e32 v20, v20, v24
	;; [unrolled: 1-line block ×4, first 2 shown]
	v_mul_u32_u24_e32 v30, 0xb4, v33
	v_add_f16_e32 v31, v32, v31
	v_add_f16_e32 v21, v21, v29
	v_pack_b32_f16 v19, v19, v20
	v_pack_b32_f16 v20, v22, v25
	v_add_nc_u32_e32 v23, v30, v61
	v_perm_b32 v24, v100, v27, 0x5040100
	v_pack_b32_f16 v21, v21, v31
	v_perm_b32 v26, v102, v28, 0x5040100
	s_delay_alu instid0(VALU_DEP_4)
	v_lshl_add_u32 v22, v23, 2, v60
	v_perm_b32 v23, v103, v101, 0x5040100
	ds_store_2addr_b32 v22, v19, v20 offset1:30
	ds_store_2addr_b32 v22, v21, v24 offset0:60 offset1:90
	ds_store_2addr_b32 v22, v26, v23 offset0:120 offset1:150
.LBB0_11:
	s_wait_alu 0xfffe
	s_or_b32 exec_lo, exec_lo, s1
	v_add_nc_u32_e32 v20, 0x400, v40
	v_add_nc_u32_e32 v19, 0x200, v40
	global_wb scope:SCOPE_SE
	s_wait_dscnt 0x0
	s_barrier_signal -1
	s_barrier_wait -1
	global_inv scope:SCOPE_SE
	ds_load_2addr_b32 v[31:32], v40 offset1:54
	ds_load_2addr_b32 v[29:30], v40 offset0:108 offset1:180
	ds_load_2addr_b32 v[35:36], v20 offset0:104 offset1:158
	;; [unrolled: 1-line block ×3, first 2 shown]
	ds_load_b32 v104, v40 offset:1872
	s_and_saveexec_b32 s1, vcc_lo
	s_cbranch_execz .LBB0_13
; %bb.12:
	ds_load_2addr_b32 v[27:28], v19 offset0:34 offset1:214
	ds_load_b32 v101, v40 offset:2088
	s_wait_dscnt 0x1
	v_lshrrev_b32_e32 v100, 16, v27
	v_lshrrev_b32_e32 v102, 16, v28
	s_wait_dscnt 0x0
	v_lshrrev_b32_e32 v103, 16, v101
.LBB0_13:
	s_wait_alu 0xfffe
	s_or_b32 exec_lo, exec_lo, s1
	v_lshlrev_b32_e32 v19, 3, v53
	v_lshlrev_b32_e32 v20, 3, v93
	;; [unrolled: 1-line block ×3, first 2 shown]
	s_wait_dscnt 0x2
	v_lshrrev_b32_e32 v82, 16, v35
	s_wait_dscnt 0x1
	v_lshrrev_b32_e32 v106, 16, v33
	s_clause 0x2
	global_load_b64 v[25:26], v19, s[2:3] offset:708
	global_load_b64 v[23:24], v20, s[2:3] offset:708
	;; [unrolled: 1-line block ×3, first 2 shown]
	v_add_co_u32 v19, s1, 0xffffffee, v53
	s_wait_alu 0xf1ff
	v_add_co_ci_u32_e64 v20, null, 0, -1, s1
	v_lshl_add_u32 v93, v38, 2, v37
	s_delay_alu instid0(VALU_DEP_3) | instskip(SKIP_1) | instid1(VALU_DEP_4)
	v_cndmask_b32_e32 v19, v19, v39, vcc_lo
	v_lshrrev_b32_e32 v38, 16, v36
	v_cndmask_b32_e32 v20, v20, v81, vcc_lo
	v_lshrrev_b32_e32 v81, 16, v30
	v_lshrrev_b32_e32 v108, 16, v34
	s_wait_dscnt 0x0
	v_lshrrev_b32_e32 v109, 16, v104
	v_lshrrev_b32_e32 v39, 16, v31
	v_lshlrev_b64_e32 v[19:20], 3, v[19:20]
	v_lshrrev_b32_e32 v105, 16, v32
	v_lshrrev_b32_e32 v107, 16, v29
	v_add_nc_u32_e32 v110, 0x400, v93
	s_delay_alu instid0(VALU_DEP_4)
	v_add_co_u32 v19, s1, s2, v19
	s_wait_alu 0xf1ff
	v_add_co_ci_u32_e64 v20, s1, s3, v20, s1
	global_load_b64 v[19:20], v[19:20], off offset:708
	s_wait_loadcnt 0x3
	v_lshrrev_b32_e32 v99, 16, v25
	v_lshrrev_b32_e32 v98, 16, v26
	s_wait_loadcnt 0x2
	v_lshrrev_b32_e32 v97, 16, v23
	v_lshrrev_b32_e32 v96, 16, v24
	;; [unrolled: 3-line block ×3, first 2 shown]
	v_mul_f16_e32 v111, v81, v99
	v_mul_f16_e32 v112, v30, v99
	;; [unrolled: 1-line block ×12, first 2 shown]
	v_fma_f16 v30, v30, v25, -v111
	v_fmac_f16_e32 v112, v81, v25
	v_fma_f16 v35, v35, v26, -v113
	v_fmac_f16_e32 v114, v82, v26
	;; [unrolled: 2-line block ×5, first 2 shown]
	v_fmac_f16_e32 v122, v109, v22
	v_fma_f16 v38, v104, v22, -v121
	v_add_f16_e32 v104, v31, v30
	v_add_f16_e32 v106, v30, v35
	v_sub_f16_e32 v108, v112, v114
	v_add_f16_e32 v109, v39, v112
	v_add_f16_e32 v111, v112, v114
	;; [unrolled: 1-line block ×4, first 2 shown]
	v_sub_f16_e32 v115, v116, v118
	v_add_f16_e32 v117, v105, v116
	v_add_f16_e32 v116, v116, v118
	;; [unrolled: 1-line block ×3, first 2 shown]
	v_sub_f16_e32 v123, v120, v122
	v_add_f16_e32 v124, v107, v120
	v_add_f16_e32 v120, v120, v122
	s_wait_loadcnt 0x0
	v_lshrrev_b32_e32 v82, 16, v19
	v_lshrrev_b32_e32 v81, 16, v20
	v_sub_f16_e32 v30, v30, v35
	v_sub_f16_e32 v33, v33, v36
	v_add_f16_e32 v121, v34, v38
	v_sub_f16_e32 v34, v34, v38
	v_add_f16_e32 v35, v104, v35
	v_fma_f16 v31, -0.5, v106, v31
	v_add_f16_e32 v104, v109, v114
	v_fmac_f16_e32 v39, -0.5, v111
	v_add_f16_e32 v36, v112, v36
	v_fmac_f16_e32 v32, -0.5, v113
	v_add_f16_e32 v106, v117, v118
	v_fmac_f16_e32 v105, -0.5, v116
	v_add_f16_e32 v38, v119, v38
	v_add_f16_e32 v109, v124, v122
	v_fmac_f16_e32 v107, -0.5, v120
	v_mul_f16_e32 v111, v102, v82
	v_mul_f16_e32 v112, v28, v82
	;; [unrolled: 1-line block ×4, first 2 shown]
	v_fmamk_f16 v116, v108, 0x3aee, v31
	v_fmac_f16_e32 v31, 0xbaee, v108
	v_fmamk_f16 v108, v30, 0xbaee, v39
	v_fmac_f16_e32 v39, 0x3aee, v30
	v_fmamk_f16 v30, v115, 0x3aee, v32
	v_fmac_f16_e32 v32, 0xbaee, v115
	v_fmamk_f16 v115, v33, 0xbaee, v105
	v_fmac_f16_e32 v105, 0x3aee, v33
	v_fmamk_f16 v117, v34, 0xbaee, v107
	v_fmac_f16_e32 v107, 0x3aee, v34
	v_pack_b32_f16 v34, v35, v104
	v_pack_b32_f16 v35, v36, v106
	;; [unrolled: 1-line block ×3, first 2 shown]
	v_fma_f16 v28, v28, v19, -v111
	v_fmac_f16_e32 v112, v102, v19
	v_fma_f16 v38, v101, v20, -v113
	v_fmac_f16_e32 v114, v103, v20
	v_pack_b32_f16 v32, v32, v105
	v_fmac_f16_e32 v29, -0.5, v121
	v_pack_b32_f16 v101, v116, v108
	v_add_f16_e32 v102, v28, v38
	v_add_f16_e32 v105, v112, v114
	v_pack_b32_f16 v31, v31, v39
	v_pack_b32_f16 v39, v30, v115
	v_add_f16_e32 v30, v27, v28
	v_sub_f16_e32 v103, v112, v114
	v_add_f16_e32 v104, v100, v112
	v_sub_f16_e32 v28, v28, v38
	v_fmac_f16_e32 v27, -0.5, v102
	v_fmac_f16_e32 v100, -0.5, v105
	v_fmamk_f16 v33, v123, 0x3aee, v29
	v_fmac_f16_e32 v29, 0xbaee, v123
	ds_store_b32 v40, v101 offset:720
	ds_store_b32 v40, v31 offset:1440
	v_add_f16_e32 v30, v30, v38
	v_add_f16_e32 v102, v104, v114
	v_fmamk_f16 v31, v103, 0x3aee, v27
	v_fmac_f16_e32 v27, 0xbaee, v103
	v_fmamk_f16 v103, v28, 0xbaee, v100
	v_fmac_f16_e32 v100, 0x3aee, v28
	v_pack_b32_f16 v33, v33, v117
	v_pack_b32_f16 v29, v29, v107
	ds_store_2addr_b32 v40, v34, v35 offset1:54
	ds_store_b32 v40, v32 offset:1656
	ds_store_b32 v40, v39 offset:936
	;; [unrolled: 1-line block ×3, first 2 shown]
	ds_store_2addr_b32 v110, v33, v29 offset0:32 offset1:212
	s_and_saveexec_b32 s1, vcc_lo
	s_cbranch_execz .LBB0_15
; %bb.14:
	v_perm_b32 v28, v102, v30, 0x5040100
	v_perm_b32 v29, v103, v31, 0x5040100
	v_add_nc_u32_e32 v32, 0x200, v40
	v_perm_b32 v33, v100, v27, 0x5040100
	ds_store_2addr_b32 v32, v28, v29 offset0:34 offset1:214
	ds_store_b32 v40, v33 offset:2088
.LBB0_15:
	s_wait_alu 0xfffe
	s_or_b32 exec_lo, exec_lo, s1
	s_add_nc_u64 s[2:3], s[16:17], 0x870
	global_wb scope:SCOPE_SE
	s_wait_dscnt 0x0
	s_barrier_signal -1
	s_barrier_wait -1
	global_inv scope:SCOPE_SE
	s_clause 0x8
	global_load_b32 v36, v37, s[2:3] offset:720
	global_load_b32 v101, v[16:17], off offset:2160
	global_load_b32 v106, v37, s[2:3] offset:1440
	global_load_b32 v107, v37, s[2:3] offset:216
	global_load_b32 v108, v37, s[2:3] offset:936
	global_load_b32 v109, v37, s[2:3] offset:1656
	global_load_b32 v110, v37, s[2:3] offset:1152
	global_load_b32 v111, v37, s[2:3] offset:432
	global_load_b32 v112, v37, s[2:3] offset:1872
	v_add_nc_u32_e32 v29, 0x400, v40
	v_add_nc_u32_e32 v28, 0x200, v40
	ds_load_2addr_b32 v[32:33], v40 offset1:54
	ds_load_2addr_b32 v[34:35], v40 offset0:108 offset1:180
	ds_load_b32 v113, v40 offset:1872
	ds_load_2addr_b32 v[38:39], v29 offset0:104 offset1:158
	ds_load_2addr_b32 v[104:105], v28 offset0:106 offset1:160
	s_wait_dscnt 0x4
	v_lshrrev_b32_e32 v114, 16, v32
	v_lshrrev_b32_e32 v116, 16, v33
	s_wait_dscnt 0x3
	v_lshrrev_b32_e32 v115, 16, v35
	s_wait_dscnt 0x1
	v_lshrrev_b32_e32 v119, 16, v38
	v_lshrrev_b32_e32 v121, 16, v39
	;; [unrolled: 1-line block ×3, first 2 shown]
	s_wait_dscnt 0x0
	v_lshrrev_b32_e32 v120, 16, v104
	v_lshrrev_b32_e32 v122, 16, v105
	;; [unrolled: 1-line block ×3, first 2 shown]
	s_wait_loadcnt 0x8
	v_lshrrev_b32_e32 v124, 16, v36
	s_wait_loadcnt 0x7
	v_lshrrev_b32_e32 v123, 16, v101
	;; [unrolled: 2-line block ×9, first 2 shown]
	v_mul_f16_e64 v132, v114, v123
	v_mul_f16_e32 v123, v32, v123
	v_mul_f16_e64 v135, v116, v126
	v_mul_f16_e32 v126, v33, v126
	;; [unrolled: 2-line block ×4, first 2 shown]
	v_mul_f16_e64 v137, v121, v128
	v_mul_f16_e64 v128, v39, v128
	;; [unrolled: 1-line block ×5, first 2 shown]
	v_mul_f16_e32 v127, v104, v127
	v_mul_f16_e64 v139, v122, v130
	v_mul_f16_e64 v130, v105, v130
	v_mul_f16_e64 v140, v118, v131
	v_mul_f16_e64 v131, v113, v131
	v_fma_f16 v32, v32, v101, -v132
	v_fmac_f16_e32 v123, v114, v101
	v_fma_f16 v33, v33, v107, -v135
	v_fmac_f16_e32 v126, v116, v107
	;; [unrolled: 2-line block ×4, first 2 shown]
	v_fma_f16 v39, v39, v109, -v137
	v_fmac_f16_e64 v128, v121, v109
	v_fma_f16 v34, v34, v111, -v138
	v_fmac_f16_e64 v129, v117, v111
	v_fma_f16 v38, v104, v108, -v136
	v_fmac_f16_e32 v127, v120, v108
	v_fma_f16 v101, v105, v110, -v139
	v_fmac_f16_e64 v130, v122, v110
	v_fma_f16 v104, v113, v112, -v140
	v_fmac_f16_e64 v131, v118, v112
	v_pack_b32_f16 v32, v32, v123
	v_pack_b32_f16 v33, v33, v126
	;; [unrolled: 1-line block ×9, first 2 shown]
	ds_store_2addr_b32 v40, v32, v33 offset1:54
	ds_store_2addr_b32 v29, v36, v39 offset0:104 offset1:158
	ds_store_2addr_b32 v40, v34, v35 offset0:108 offset1:180
	;; [unrolled: 1-line block ×3, first 2 shown]
	ds_store_b32 v40, v104 offset:1872
	s_and_saveexec_b32 s1, vcc_lo
	s_cbranch_execz .LBB0_17
; %bb.16:
	s_wait_alu 0xfffe
	v_add_co_u32 v32, s2, s2, v37
	s_wait_alu 0xf1ff
	v_add_co_ci_u32_e64 v33, null, s3, 0, s2
	s_clause 0x2
	global_load_b32 v34, v[32:33], off offset:648
	global_load_b32 v35, v[32:33], off offset:1368
	global_load_b32 v36, v[32:33], off offset:2088
	ds_load_2addr_b32 v[32:33], v28 offset0:34 offset1:214
	ds_load_b32 v37, v40 offset:2088
	s_wait_dscnt 0x1
	v_lshrrev_b32_e32 v38, 16, v32
	v_lshrrev_b32_e32 v101, 16, v33
	s_wait_dscnt 0x0
	v_lshrrev_b32_e32 v105, 16, v37
	s_wait_loadcnt 0x2
	v_lshrrev_b32_e32 v39, 16, v34
	s_wait_loadcnt 0x1
	v_lshrrev_b32_e32 v104, 16, v35
	s_wait_loadcnt 0x0
	v_lshrrev_b32_e32 v106, 16, v36
	v_mul_f16_e32 v107, v38, v39
	v_mul_f16_e32 v39, v32, v39
	;; [unrolled: 1-line block ×6, first 2 shown]
	v_fma_f16 v32, v32, v34, -v107
	v_fmac_f16_e32 v39, v38, v34
	v_fma_f16 v33, v33, v35, -v108
	v_fmac_f16_e32 v104, v101, v35
	v_fma_f16 v34, v37, v36, -v109
	v_fmac_f16_e32 v106, v105, v36
	v_pack_b32_f16 v32, v32, v39
	s_delay_alu instid0(VALU_DEP_4) | instskip(NEXT) | instid1(VALU_DEP_3)
	v_pack_b32_f16 v33, v33, v104
	v_pack_b32_f16 v34, v34, v106
	ds_store_2addr_b32 v28, v32, v33 offset0:34 offset1:214
	ds_store_b32 v40, v34 offset:2088
.LBB0_17:
	s_wait_alu 0xfffe
	s_or_b32 exec_lo, exec_lo, s1
	global_wb scope:SCOPE_SE
	s_wait_dscnt 0x0
	s_barrier_signal -1
	s_barrier_wait -1
	global_inv scope:SCOPE_SE
	ds_load_2addr_b32 v[36:37], v40 offset1:54
	ds_load_2addr_b32 v[34:35], v40 offset0:108 offset1:180
	ds_load_2addr_b32 v[32:33], v29 offset0:104 offset1:158
	;; [unrolled: 1-line block ×3, first 2 shown]
	ds_load_b32 v104, v40 offset:1872
	s_and_saveexec_b32 s1, vcc_lo
	s_cbranch_execz .LBB0_19
; %bb.18:
	v_add_nc_u32_e32 v27, 0x200, v40
	ds_load_2addr_b32 v[30:31], v27 offset0:34 offset1:214
	ds_load_b32 v27, v40 offset:2088
	s_wait_dscnt 0x1
	v_lshrrev_b32_e32 v102, 16, v30
	v_lshrrev_b32_e32 v103, 16, v31
	s_wait_dscnt 0x0
	v_lshrrev_b32_e32 v100, 16, v27
.LBB0_19:
	s_wait_alu 0xfffe
	s_or_b32 exec_lo, exec_lo, s1
	v_add_f16_e32 v28, v31, v27
	s_delay_alu instid0(VALU_DEP_2)
	v_add_f16_e32 v101, v103, v100
	v_sub_f16_e32 v107, v103, v100
	s_wait_dscnt 0x2
	v_pk_add_f16 v110, v35, v32
	v_pk_add_f16 v111, v35, v32 neg_lo:[0,1] neg_hi:[0,1]
	v_fma_f16 v29, -0.5, v28, v30
	v_pk_add_f16 v105, v36, v35
	v_sub_f16_e32 v109, v31, v27
	v_fma_f16 v101, -0.5, v101, v102
	v_pk_fma_f16 v36, v110, 0.5, v36 op_sel_hi:[1,0,1] neg_lo:[1,0,0] neg_hi:[1,0,0]
	v_fmamk_f16 v28, v107, 0xbaee, v29
	v_fmac_f16_e32 v29, 0x3aee, v107
	v_pk_mul_f16 v107, 0x3aee, v111 op_sel_hi:[0,1]
	s_wait_dscnt 0x1
	v_pk_add_f16 v106, v37, v38
	v_pk_add_f16 v110, v38, v33
	v_pk_add_f16 v38, v38, v33 neg_lo:[0,1] neg_hi:[0,1]
	v_pk_add_f16 v108, v34, v39
	v_fmamk_f16 v35, v109, 0x3aee, v101
	v_fmac_f16_e32 v101, 0xbaee, v109
	v_pk_add_f16 v109, v36, v107 op_sel:[0,1] op_sel_hi:[1,0] neg_lo:[0,1] neg_hi:[0,1]
	v_pk_add_f16 v36, v36, v107 op_sel:[0,1] op_sel_hi:[1,0]
	s_wait_dscnt 0x0
	v_pk_add_f16 v107, v39, v104
	v_pk_add_f16 v39, v39, v104 neg_lo:[0,1] neg_hi:[0,1]
	v_pk_fma_f16 v37, v110, 0.5, v37 op_sel_hi:[1,0,1] neg_lo:[1,0,0] neg_hi:[1,0,0]
	v_pk_mul_f16 v38, 0x3aee, v38 op_sel_hi:[0,1]
	v_pk_add_f16 v32, v105, v32
	v_pk_fma_f16 v34, v107, 0.5, v34 op_sel_hi:[1,0,1] neg_lo:[1,0,0] neg_hi:[1,0,0]
	v_pk_mul_f16 v39, 0x3aee, v39 op_sel_hi:[0,1]
	v_bfi_b32 v105, 0xffff, v109, v36
	v_pk_add_f16 v107, v37, v38 op_sel:[0,1] op_sel_hi:[1,0] neg_lo:[0,1] neg_hi:[0,1]
	v_pk_add_f16 v37, v37, v38 op_sel:[0,1] op_sel_hi:[1,0]
	v_bfi_b32 v36, 0xffff, v36, v109
	v_pk_add_f16 v38, v34, v39 op_sel:[0,1] op_sel_hi:[1,0] neg_lo:[0,1] neg_hi:[0,1]
	v_pk_add_f16 v34, v34, v39 op_sel:[0,1] op_sel_hi:[1,0]
	v_pk_add_f16 v33, v106, v33
	v_bfi_b32 v39, 0xffff, v107, v37
	v_bfi_b32 v37, 0xffff, v37, v107
	v_pk_add_f16 v104, v108, v104
	v_bfi_b32 v106, 0xffff, v38, v34
	global_wb scope:SCOPE_SE
	s_barrier_signal -1
	s_barrier_wait -1
	global_inv scope:SCOPE_SE
	v_bfi_b32 v34, 0xffff, v34, v38
	ds_store_2addr_b32 v65, v32, v105 offset1:1
	ds_store_b32 v65, v36 offset:8
	ds_store_2addr_b32 v66, v33, v39 offset1:1
	ds_store_b32 v66, v37 offset:8
	;; [unrolled: 2-line block ×3, first 2 shown]
	s_and_saveexec_b32 s1, vcc_lo
	s_cbranch_execz .LBB0_21
; %bb.20:
	v_add_f16_e32 v32, v102, v103
	v_add_f16_e32 v30, v30, v31
	s_delay_alu instid0(VALU_DEP_2) | instskip(NEXT) | instid1(VALU_DEP_2)
	v_add_f16_e32 v31, v32, v100
	v_add_f16_e32 v27, v30, v27
	v_lshl_add_u32 v30, v67, 2, v60
	v_perm_b32 v32, v35, v28, 0x5040100
	s_delay_alu instid0(VALU_DEP_3)
	v_pack_b32_f16 v27, v27, v31
	v_perm_b32 v31, v101, v29, 0x5040100
	ds_store_2addr_b32 v30, v27, v32 offset1:1
	ds_store_b32 v30, v31 offset:8
.LBB0_21:
	s_wait_alu 0xfffe
	s_or_b32 exec_lo, exec_lo, s1
	global_wb scope:SCOPE_SE
	s_wait_dscnt 0x0
	s_barrier_signal -1
	s_barrier_wait -1
	global_inv scope:SCOPE_SE
	ds_load_2addr_b32 v[30:31], v40 offset1:54
	ds_load_2addr_b32 v[33:34], v40 offset0:108 offset1:162
	v_add_nc_u32_e32 v32, 0x200, v40
	v_add_nc_u32_e32 v27, 0x400, v40
	ds_load_2addr_b32 v[36:37], v32 offset0:88 offset1:142
	ds_load_2addr_b32 v[38:39], v27 offset0:68 offset1:122
	ds_load_2addr_b32 v[65:66], v27 offset0:176 offset1:230
	global_wb scope:SCOPE_SE
	s_wait_dscnt 0x0
	s_barrier_signal -1
	s_barrier_wait -1
	global_inv scope:SCOPE_SE
	v_lshrrev_b32_e32 v68, 16, v31
	v_lshrrev_b32_e32 v100, 16, v33
	v_mul_f16_e32 v103, v79, v31
	v_mul_f16_e32 v104, v80, v33
	v_lshrrev_b32_e32 v102, 16, v34
	v_lshrrev_b32_e32 v106, 16, v36
	v_mul_f16_e32 v79, v79, v68
	v_mul_f16_e32 v80, v80, v100
	v_lshrrev_b32_e32 v107, 16, v37
	v_lshrrev_b32_e32 v108, 16, v38
	v_fma_f16 v68, v4, v68, -v103
	v_fma_f16 v100, v5, v100, -v104
	v_fmac_f16_e32 v79, v4, v31
	v_fmac_f16_e32 v80, v5, v33
	v_mul_f16_e32 v4, v77, v106
	v_mul_f16_e32 v5, v77, v36
	;; [unrolled: 1-line block ×3, first 2 shown]
	v_lshrrev_b32_e32 v110, 16, v65
	v_mul_f16_e32 v78, v78, v102
	v_mul_f16_e32 v31, v76, v107
	v_fmac_f16_e32 v4, v7, v36
	v_fma_f16 v5, v7, v106, -v5
	v_mul_f16_e32 v7, v76, v37
	v_mul_f16_e32 v33, v75, v108
	v_lshrrev_b32_e32 v109, 16, v39
	v_fmac_f16_e32 v78, v6, v34
	v_fmac_f16_e32 v31, v0, v37
	v_mul_f16_e32 v34, v75, v38
	v_fma_f16 v0, v0, v107, -v7
	v_fmac_f16_e32 v33, v1, v38
	v_mul_f16_e32 v7, v73, v65
	v_mul_f16_e32 v38, v73, v110
	v_lshrrev_b32_e32 v111, 16, v66
	v_mul_f16_e32 v36, v74, v109
	v_add_f16_e32 v37, v4, v33
	v_fma_f16 v7, v3, v110, -v7
	v_fmac_f16_e32 v38, v3, v65
	v_lshrrev_b32_e32 v67, 16, v30
	v_fma_f16 v1, v1, v108, -v34
	v_fmac_f16_e32 v36, v2, v39
	v_mul_f16_e32 v34, v74, v39
	v_mul_f16_e32 v39, v72, v111
	v_add_f16_e32 v73, v30, v80
	v_fma_f16 v37, -0.5, v37, v30
	v_sub_f16_e32 v74, v100, v7
	v_add_f16_e32 v76, v80, v38
	v_fma_f16 v2, v2, v109, -v34
	v_fmac_f16_e32 v39, v64, v66
	v_add_f16_e32 v3, v73, v4
	v_fmamk_f16 v34, v74, 0xbb9c, v37
	v_sub_f16_e32 v65, v5, v1
	v_sub_f16_e32 v73, v80, v4
	;; [unrolled: 1-line block ×3, first 2 shown]
	v_mul_f16_e32 v66, v72, v66
	v_fmac_f16_e32 v30, -0.5, v76
	v_fmac_f16_e32 v37, 0x3b9c, v74
	v_add_f16_e32 v76, v67, v100
	v_add_f16_e32 v3, v3, v33
	v_fmac_f16_e32 v34, 0xb8b4, v65
	v_add_f16_e32 v72, v73, v75
	v_fma_f16 v64, v64, v111, -v66
	v_fmamk_f16 v66, v65, 0x3b9c, v30
	v_sub_f16_e32 v73, v4, v80
	v_sub_f16_e32 v75, v33, v38
	v_fmac_f16_e32 v37, 0x38b4, v65
	v_add_f16_e32 v77, v5, v1
	v_fmac_f16_e32 v30, 0xbb9c, v65
	v_add_f16_e32 v65, v76, v5
	v_add_f16_e32 v3, v3, v38
	v_fmac_f16_e32 v66, 0xb8b4, v74
	v_add_f16_e32 v73, v73, v75
	v_fma_f16 v75, -0.5, v77, v67
	v_sub_f16_e32 v38, v80, v38
	v_fmac_f16_e32 v30, 0x38b4, v74
	v_add_f16_e32 v65, v65, v1
	v_add_f16_e32 v74, v100, v7
	v_fmac_f16_e32 v34, 0x34f2, v72
	v_fmac_f16_e32 v37, 0x34f2, v72
	v_fmamk_f16 v72, v38, 0x3b9c, v75
	v_sub_f16_e32 v4, v4, v33
	v_sub_f16_e32 v76, v7, v1
	v_fmac_f16_e32 v67, -0.5, v74
	v_add_f16_e32 v65, v65, v7
	v_fmac_f16_e32 v75, 0xbb9c, v38
	v_sub_f16_e32 v1, v1, v7
	v_add_f16_e32 v7, v79, v78
	v_sub_f16_e32 v33, v100, v5
	v_sub_f16_e32 v5, v5, v100
	v_fmac_f16_e32 v66, 0x34f2, v73
	v_fmac_f16_e32 v30, 0x34f2, v73
	;; [unrolled: 1-line block ×3, first 2 shown]
	v_fmamk_f16 v73, v4, 0xbb9c, v67
	v_fmac_f16_e32 v75, 0xb8b4, v4
	v_fmac_f16_e32 v67, 0x3b9c, v4
	v_add_f16_e32 v4, v7, v31
	v_fma_f16 v6, v6, v102, -v105
	v_add_f16_e32 v33, v33, v76
	v_add_f16_e32 v1, v5, v1
	v_add_f16_e32 v5, v31, v36
	v_fmac_f16_e32 v73, 0x38b4, v38
	v_fmac_f16_e32 v67, 0xb8b4, v38
	v_add_f16_e32 v4, v4, v36
	v_add_f16_e32 v7, v78, v39
	v_fmac_f16_e32 v72, 0x34f2, v33
	v_fmac_f16_e32 v75, 0x34f2, v33
	v_fma_f16 v5, -0.5, v5, v79
	v_sub_f16_e32 v33, v6, v64
	v_fmac_f16_e32 v73, 0x34f2, v1
	v_fmac_f16_e32 v67, 0x34f2, v1
	v_add_f16_e32 v1, v4, v39
	v_sub_f16_e32 v4, v0, v2
	v_fmac_f16_e32 v79, -0.5, v7
	v_fmamk_f16 v7, v33, 0xbb9c, v5
	v_sub_f16_e32 v38, v78, v31
	v_sub_f16_e32 v74, v39, v36
	v_fmac_f16_e32 v5, 0x3b9c, v33
	v_fmamk_f16 v76, v4, 0x3b9c, v79
	v_fmac_f16_e32 v79, 0xbb9c, v4
	v_sub_f16_e32 v77, v31, v78
	v_sub_f16_e32 v80, v36, v39
	v_fmac_f16_e32 v7, 0xb8b4, v4
	v_add_f16_e32 v38, v38, v74
	v_fmac_f16_e32 v5, 0x38b4, v4
	v_add_f16_e32 v4, v0, v2
	v_fmac_f16_e32 v76, 0xb8b4, v33
	v_fmac_f16_e32 v79, 0x38b4, v33
	v_add_f16_e32 v33, v6, v64
	v_add_f16_e32 v74, v77, v80
	v_fmac_f16_e32 v7, 0x34f2, v38
	v_fmac_f16_e32 v5, 0x34f2, v38
	v_fma_f16 v4, -0.5, v4, v68
	v_sub_f16_e32 v38, v78, v39
	v_add_f16_e32 v39, v68, v6
	v_sub_f16_e32 v31, v31, v36
	v_fmac_f16_e32 v68, -0.5, v33
	v_fmac_f16_e32 v76, 0x34f2, v74
	v_fmac_f16_e32 v79, 0x34f2, v74
	v_fmamk_f16 v33, v38, 0x3b9c, v4
	v_sub_f16_e32 v36, v6, v0
	v_sub_f16_e32 v74, v64, v2
	v_fmamk_f16 v77, v31, 0xbb9c, v68
	v_sub_f16_e32 v6, v0, v6
	v_sub_f16_e32 v78, v2, v64
	v_fmac_f16_e32 v68, 0x3b9c, v31
	v_fmac_f16_e32 v4, 0xbb9c, v38
	;; [unrolled: 1-line block ×3, first 2 shown]
	v_add_f16_e32 v36, v36, v74
	v_fmac_f16_e32 v77, 0x38b4, v38
	v_add_f16_e32 v6, v6, v78
	v_fmac_f16_e32 v68, 0xb8b4, v38
	v_fmac_f16_e32 v4, 0xb8b4, v31
	v_add_f16_e32 v0, v39, v0
	v_fmac_f16_e32 v33, 0x34f2, v36
	v_fmac_f16_e32 v77, 0x34f2, v6
	;; [unrolled: 1-line block ×4, first 2 shown]
	v_add_f16_e32 v0, v0, v2
	v_mul_f16_e32 v2, 0xb8b4, v33
	v_mul_f16_e32 v33, 0x3a79, v33
	;; [unrolled: 1-line block ×8, first 2 shown]
	v_add_f16_e32 v36, v0, v64
	v_fmac_f16_e32 v2, 0x3a79, v7
	v_fmac_f16_e32 v33, 0x38b4, v7
	;; [unrolled: 1-line block ×8, first 2 shown]
	v_add_f16_e32 v39, v3, v1
	v_add_f16_e32 v64, v34, v2
	;; [unrolled: 1-line block ×10, first 2 shown]
	v_sub_f16_e32 v3, v3, v1
	v_sub_f16_e32 v0, v34, v2
	;; [unrolled: 1-line block ×10, first 2 shown]
	v_pack_b32_f16 v6, v39, v7
	v_pack_b32_f16 v7, v64, v76
	;; [unrolled: 1-line block ×10, first 2 shown]
	ds_store_2addr_b32 v62, v6, v7 offset1:3
	ds_store_2addr_b32 v62, v30, v31 offset0:6 offset1:9
	ds_store_2addr_b32 v62, v38, v2 offset0:12 offset1:15
	;; [unrolled: 1-line block ×4, first 2 shown]
	global_wb scope:SCOPE_SE
	s_wait_dscnt 0x0
	s_barrier_signal -1
	s_barrier_wait -1
	global_inv scope:SCOPE_SE
	ds_load_2addr_b32 v[2:3], v40 offset1:90
	ds_load_2addr_b32 v[30:31], v32 offset0:52 offset1:142
	ds_load_2addr_b32 v[6:7], v27 offset0:104 offset1:194
	s_and_saveexec_b32 s1, s0
	s_cbranch_execz .LBB0_23
; %bb.22:
	ds_load_2addr_b32 v[0:1], v40 offset0:54 offset1:144
	ds_load_2addr_b32 v[4:5], v32 offset0:106 offset1:196
	ds_load_2addr_b32 v[28:29], v27 offset0:158 offset1:248
	s_wait_dscnt 0x2
	v_lshrrev_b32_e32 v33, 16, v0
	v_lshrrev_b32_e32 v37, 16, v1
	s_wait_dscnt 0x1
	v_lshrrev_b32_e32 v36, 16, v4
	v_lshrrev_b32_e32 v34, 16, v5
	s_wait_dscnt 0x0
	v_lshrrev_b32_e32 v35, 16, v28
	v_lshrrev_b32_e32 v101, 16, v29
.LBB0_23:
	s_wait_alu 0xfffe
	s_or_b32 exec_lo, exec_lo, s1
	s_wait_dscnt 0x2
	v_lshrrev_b32_e32 v27, 16, v3
	s_wait_dscnt 0x1
	v_lshrrev_b32_e32 v38, 16, v30
	v_lshrrev_b32_e32 v39, 16, v31
	v_mul_f16_e32 v65, v91, v3
	s_wait_dscnt 0x0
	v_lshrrev_b32_e32 v62, 16, v6
	v_mul_f16_e32 v64, v91, v27
	v_lshrrev_b32_e32 v66, 16, v7
	v_mul_f16_e32 v67, v89, v38
	v_mul_f16_e32 v68, v89, v30
	v_lshrrev_b32_e32 v32, 16, v2
	v_fmac_f16_e32 v64, v12, v3
	v_fma_f16 v3, v12, v27, -v65
	v_mul_f16_e32 v12, v87, v39
	v_mul_f16_e32 v27, v87, v31
	v_fmac_f16_e32 v67, v13, v30
	v_mul_f16_e32 v30, v85, v62
	v_fma_f16 v13, v13, v38, -v68
	v_fmac_f16_e32 v12, v14, v31
	v_fma_f16 v14, v14, v39, -v27
	v_mul_f16_e32 v27, v83, v66
	v_mul_f16_e32 v31, v85, v6
	v_fmac_f16_e32 v30, v15, v6
	v_mul_f16_e32 v6, v83, v7
	v_mul_f16_e32 v38, v90, v36
	v_fmac_f16_e32 v27, v71, v7
	v_mul_f16_e32 v7, v92, v1
	v_fma_f16 v15, v15, v62, -v31
	v_mul_f16_e32 v31, v92, v37
	v_fmac_f16_e32 v38, v9, v4
	v_fma_f16 v6, v71, v66, -v6
	v_fma_f16 v37, v8, v37, -v7
	v_mul_f16_e32 v7, v88, v34
	v_fmac_f16_e32 v31, v8, v1
	v_mul_f16_e32 v1, v90, v4
	v_mul_f16_e32 v4, v88, v5
	;; [unrolled: 1-line block ×3, first 2 shown]
	v_fmac_f16_e32 v7, v10, v5
	v_mul_f16_e32 v5, v86, v28
	v_fma_f16 v1, v9, v36, -v1
	v_fma_f16 v9, v10, v34, -v4
	v_mul_f16_e32 v10, v84, v101
	v_fmac_f16_e32 v8, v11, v28
	v_mul_f16_e32 v4, v84, v29
	v_fma_f16 v5, v11, v35, -v5
	v_add_f16_e32 v11, v67, v30
	v_fmac_f16_e32 v10, v70, v29
	v_add_f16_e32 v28, v2, v67
	v_fma_f16 v29, v70, v101, -v4
	v_add_f16_e32 v4, v13, v15
	v_fmac_f16_e32 v2, -0.5, v11
	v_sub_f16_e32 v11, v13, v15
	v_add_f16_e32 v28, v28, v30
	v_add_f16_e32 v13, v32, v13
	v_fmac_f16_e32 v32, -0.5, v4
	v_sub_f16_e32 v4, v67, v30
	v_fmamk_f16 v30, v11, 0xbaee, v2
	v_fmac_f16_e32 v2, 0x3aee, v11
	v_add_f16_e32 v11, v14, v6
	v_add_f16_e32 v34, v12, v27
	;; [unrolled: 1-line block ×4, first 2 shown]
	v_fmamk_f16 v15, v4, 0x3aee, v32
	v_fmac_f16_e32 v3, -0.5, v11
	v_sub_f16_e32 v11, v12, v27
	v_add_f16_e32 v12, v64, v12
	v_fmac_f16_e32 v64, -0.5, v34
	v_sub_f16_e32 v14, v14, v6
	v_fmac_f16_e32 v32, 0xbaee, v4
	v_fmamk_f16 v4, v11, 0x3aee, v3
	v_fmac_f16_e32 v3, 0xbaee, v11
	v_add_f16_e32 v11, v12, v27
	v_fmamk_f16 v12, v14, 0xbaee, v64
	v_fmac_f16_e32 v64, 0x3aee, v14
	v_mul_f16_e32 v14, 0xbaee, v4
	v_mul_f16_e32 v27, 0xbaee, v3
	v_mul_f16_e32 v4, 0.5, v4
	v_mul_f16_e32 v3, -0.5, v3
	v_add_f16_e32 v6, v35, v6
	v_add_f16_e32 v34, v28, v11
	v_fmac_f16_e32 v27, -0.5, v64
	v_fmac_f16_e32 v4, 0x3aee, v12
	v_fmac_f16_e32 v3, 0x3aee, v64
	v_add_f16_e32 v39, v13, v6
	v_sub_f16_e32 v66, v13, v6
	v_add_f16_e32 v36, v2, v27
	v_sub_f16_e32 v65, v2, v27
	v_add_f16_e32 v2, v38, v8
	v_add_f16_e32 v62, v15, v4
	v_sub_f16_e32 v67, v15, v4
	v_add_f16_e32 v4, v0, v38
	v_add_f16_e32 v64, v32, v3
	v_fmac_f16_e32 v0, -0.5, v2
	v_sub_f16_e32 v2, v1, v5
	v_sub_f16_e32 v32, v32, v3
	v_add_f16_e32 v6, v1, v5
	v_add_f16_e32 v3, v4, v8
	;; [unrolled: 1-line block ×3, first 2 shown]
	v_fmamk_f16 v4, v2, 0xbaee, v0
	v_fmac_f16_e32 v0, 0x3aee, v2
	v_add_f16_e32 v2, v9, v29
	v_sub_f16_e32 v28, v28, v11
	v_add_f16_e32 v5, v1, v5
	v_add_f16_e32 v1, v7, v10
	;; [unrolled: 1-line block ×3, first 2 shown]
	v_fmac_f16_e32 v37, -0.5, v2
	v_sub_f16_e32 v2, v7, v10
	v_fmac_f16_e32 v14, 0.5, v12
	v_fmac_f16_e32 v33, -0.5, v6
	v_sub_f16_e32 v8, v38, v8
	v_add_f16_e32 v7, v31, v7
	v_fmac_f16_e32 v31, -0.5, v1
	v_sub_f16_e32 v1, v9, v29
	v_fmamk_f16 v12, v2, 0x3aee, v37
	v_fmac_f16_e32 v37, 0xbaee, v2
	v_fmamk_f16 v6, v8, 0x3aee, v33
	v_fmac_f16_e32 v33, 0xbaee, v8
	v_add_f16_e32 v7, v7, v10
	v_fmamk_f16 v2, v1, 0xbaee, v31
	v_fmac_f16_e32 v31, 0x3aee, v1
	v_mul_f16_e32 v8, 0xbaee, v12
	v_mul_f16_e32 v9, 0xbaee, v37
	v_mul_f16_e32 v10, 0.5, v12
	v_mul_f16_e32 v27, -0.5, v37
	v_add_f16_e32 v35, v30, v14
	v_add_f16_e32 v15, v11, v29
	v_fmac_f16_e32 v8, 0.5, v2
	v_fmac_f16_e32 v9, -0.5, v31
	v_fmac_f16_e32 v10, 0x3aee, v2
	v_fmac_f16_e32 v27, 0x3aee, v31
	v_sub_f16_e32 v30, v30, v14
	v_sub_f16_e32 v1, v3, v7
	;; [unrolled: 1-line block ×7, first 2 shown]
	v_pack_b32_f16 v29, v34, v39
	v_pack_b32_f16 v31, v35, v62
	;; [unrolled: 1-line block ×6, first 2 shown]
	global_wb scope:SCOPE_SE
	s_barrier_signal -1
	s_barrier_wait -1
	global_inv scope:SCOPE_SE
	ds_store_2addr_b32 v69, v29, v31 offset1:30
	ds_store_2addr_b32 v69, v34, v28 offset0:60 offset1:90
	ds_store_2addr_b32 v69, v30, v32 offset0:120 offset1:150
	s_and_saveexec_b32 s1, s0
	s_cbranch_execz .LBB0_25
; %bb.24:
	v_and_b32_e32 v28, 0xffff, v63
	v_add_f16_e32 v6, v6, v10
	v_add_f16_e32 v5, v5, v15
	;; [unrolled: 1-line block ×4, first 2 shown]
	v_mul_u32_u24_e32 v10, 0xb4, v28
	v_add_f16_e32 v27, v33, v27
	v_add_f16_e32 v0, v0, v9
	v_pack_b32_f16 v3, v3, v5
	v_pack_b32_f16 v4, v4, v6
	v_add_nc_u32_e32 v7, v10, v61
	v_perm_b32 v8, v11, v1, 0x5040100
	v_pack_b32_f16 v0, v0, v27
	v_perm_b32 v9, v13, v2, 0x5040100
	v_perm_b32 v6, v14, v12, 0x5040100
	v_lshl_add_u32 v5, v7, 2, v60
	ds_store_2addr_b32 v5, v3, v4 offset1:30
	ds_store_2addr_b32 v5, v0, v8 offset0:60 offset1:90
	ds_store_2addr_b32 v5, v9, v6 offset0:120 offset1:150
.LBB0_25:
	s_wait_alu 0xfffe
	s_or_b32 exec_lo, exec_lo, s1
	v_add_nc_u32_e32 v7, 0x400, v40
	v_add_nc_u32_e32 v0, 0x200, v40
	global_wb scope:SCOPE_SE
	s_wait_dscnt 0x0
	s_barrier_signal -1
	s_barrier_wait -1
	global_inv scope:SCOPE_SE
	ds_load_2addr_b32 v[5:6], v40 offset1:54
	ds_load_2addr_b32 v[3:4], v40 offset0:108 offset1:180
	ds_load_2addr_b32 v[9:10], v7 offset0:104 offset1:158
	;; [unrolled: 1-line block ×3, first 2 shown]
	ds_load_b32 v27, v40 offset:1872
	v_add_nc_u32_e32 v15, 0x1b0, v93
	s_and_saveexec_b32 s0, vcc_lo
	s_cbranch_execz .LBB0_27
; %bb.26:
	ds_load_2addr_b32 v[1:2], v0 offset0:34 offset1:214
	ds_load_b32 v12, v40 offset:2088
	s_wait_dscnt 0x1
	v_lshrrev_b32_e32 v11, 16, v1
	v_lshrrev_b32_e32 v13, 16, v2
	s_wait_dscnt 0x0
	v_lshrrev_b32_e32 v14, 16, v12
.LBB0_27:
	s_wait_alu 0xfffe
	s_or_b32 exec_lo, exec_lo, s0
	s_wait_dscnt 0x3
	v_lshrrev_b32_e32 v29, 16, v4
	s_wait_dscnt 0x2
	v_lshrrev_b32_e32 v30, 16, v9
	;; [unrolled: 2-line block ×3, first 2 shown]
	v_mul_f16_e32 v37, v99, v4
	v_lshrrev_b32_e32 v33, 16, v10
	v_mul_f16_e32 v35, v99, v29
	v_mul_f16_e32 v39, v98, v30
	v_lshrrev_b32_e32 v36, 16, v8
	s_wait_dscnt 0x0
	v_lshrrev_b32_e32 v38, 16, v27
	v_lshrrev_b32_e32 v28, 16, v5
	v_fmac_f16_e32 v35, v25, v4
	v_mul_f16_e32 v4, v98, v9
	v_fma_f16 v25, v25, v29, -v37
	v_mul_f16_e32 v29, v97, v32
	v_fmac_f16_e32 v39, v26, v9
	v_mul_f16_e32 v9, v97, v7
	v_fma_f16 v4, v26, v30, -v4
	v_mul_f16_e32 v26, v96, v33
	;; [unrolled: 4-line block ×4, first 2 shown]
	v_fmac_f16_e32 v23, v21, v8
	v_mul_f16_e32 v8, v94, v27
	v_fma_f16 v10, v21, v36, -v10
	v_add_f16_e32 v21, v35, v39
	v_fmac_f16_e32 v24, v22, v27
	v_add_f16_e32 v27, v5, v35
	v_fma_f16 v8, v22, v38, -v8
	v_add_f16_e32 v22, v25, v4
	v_fma_f16 v5, -0.5, v21, v5
	v_sub_f16_e32 v21, v25, v4
	v_add_f16_e32 v25, v28, v25
	v_lshrrev_b32_e32 v31, 16, v6
	v_fmac_f16_e32 v28, -0.5, v22
	v_sub_f16_e32 v22, v35, v39
	v_fmamk_f16 v30, v21, 0xbaee, v5
	v_fmac_f16_e32 v5, 0x3aee, v21
	v_add_f16_e32 v21, v29, v26
	v_add_f16_e32 v4, v25, v4
	v_fmamk_f16 v25, v22, 0x3aee, v28
	v_fmac_f16_e32 v28, 0xbaee, v22
	v_add_f16_e32 v22, v9, v7
	v_add_f16_e32 v32, v6, v29
	v_fmac_f16_e32 v6, -0.5, v21
	v_sub_f16_e32 v21, v9, v7
	v_add_f16_e32 v9, v31, v9
	v_fmac_f16_e32 v31, -0.5, v22
	v_sub_f16_e32 v22, v29, v26
	v_lshrrev_b32_e32 v34, 16, v3
	v_add_f16_e32 v32, v32, v26
	v_add_f16_e32 v7, v9, v7
	;; [unrolled: 1-line block ×3, first 2 shown]
	v_fmamk_f16 v26, v21, 0xbaee, v6
	v_fmac_f16_e32 v6, 0x3aee, v21
	v_fmamk_f16 v21, v22, 0x3aee, v31
	v_fmac_f16_e32 v31, 0xbaee, v22
	v_add_f16_e32 v22, v10, v8
	v_add_f16_e32 v29, v3, v23
	v_fmac_f16_e32 v3, -0.5, v9
	v_sub_f16_e32 v9, v10, v8
	v_add_f16_e32 v10, v34, v10
	v_fmac_f16_e32 v34, -0.5, v22
	v_sub_f16_e32 v22, v23, v24
	v_add_f16_e32 v27, v27, v39
	v_add_f16_e32 v23, v29, v24
	;; [unrolled: 1-line block ×3, first 2 shown]
	v_fmamk_f16 v24, v9, 0xbaee, v3
	v_fmac_f16_e32 v3, 0x3aee, v9
	v_fmamk_f16 v9, v22, 0x3aee, v34
	v_fmac_f16_e32 v34, 0xbaee, v22
	v_pack_b32_f16 v4, v27, v4
	v_pack_b32_f16 v7, v32, v7
	;; [unrolled: 1-line block ×9, first 2 shown]
	v_add_nc_u32_e32 v15, 0x200, v15
	ds_store_2addr_b32 v40, v4, v7 offset1:54
	ds_store_2addr_b32 v0, v21, v5 offset0:106 offset1:232
	ds_store_b32 v40, v6 offset:1656
	ds_store_2addr_b32 v40, v8, v10 offset0:108 offset1:180
	ds_store_2addr_b32 v15, v9, v3 offset0:52 offset1:232
	s_and_saveexec_b32 s0, vcc_lo
	s_cbranch_execz .LBB0_29
; %bb.28:
	v_mul_f16_e32 v0, v82, v2
	v_mul_f16_e32 v3, v81, v12
	;; [unrolled: 1-line block ×4, first 2 shown]
	s_delay_alu instid0(VALU_DEP_4) | instskip(NEXT) | instid1(VALU_DEP_4)
	v_fma_f16 v0, v19, v13, -v0
	v_fma_f16 v3, v20, v14, -v3
	s_delay_alu instid0(VALU_DEP_4) | instskip(NEXT) | instid1(VALU_DEP_4)
	v_fmac_f16_e32 v4, v19, v2
	v_fmac_f16_e32 v5, v20, v12
	s_delay_alu instid0(VALU_DEP_4) | instskip(NEXT) | instid1(VALU_DEP_4)
	v_add_f16_e32 v8, v11, v0
	v_add_f16_e32 v2, v0, v3
	v_sub_f16_e32 v0, v0, v3
	s_delay_alu instid0(VALU_DEP_4)
	v_add_f16_e32 v7, v4, v5
	v_sub_f16_e32 v6, v4, v5
	v_add_f16_e32 v4, v1, v4
	v_fma_f16 v2, -0.5, v2, v11
	v_add_f16_e32 v3, v8, v3
	v_fma_f16 v1, -0.5, v7, v1
	s_delay_alu instid0(VALU_DEP_4) | instskip(NEXT) | instid1(VALU_DEP_4)
	v_add_f16_e32 v4, v4, v5
	v_fmamk_f16 v5, v6, 0xbaee, v2
	v_fmac_f16_e32 v2, 0x3aee, v6
	s_delay_alu instid0(VALU_DEP_4) | instskip(SKIP_3) | instid1(VALU_DEP_3)
	v_fmamk_f16 v6, v0, 0x3aee, v1
	v_fmac_f16_e32 v1, 0xbaee, v0
	v_add_nc_u32_e32 v0, 0x200, v40
	v_pack_b32_f16 v3, v4, v3
	v_pack_b32_f16 v1, v1, v2
	;; [unrolled: 1-line block ×3, first 2 shown]
	ds_store_2addr_b32 v0, v3, v1 offset0:34 offset1:214
	ds_store_b32 v40, v2 offset:2088
.LBB0_29:
	s_wait_alu 0xfffe
	s_or_b32 exec_lo, exec_lo, s0
	global_wb scope:SCOPE_SE
	s_wait_dscnt 0x0
	s_barrier_signal -1
	s_barrier_wait -1
	global_inv scope:SCOPE_SE
	ds_load_2addr_b32 v[4:5], v40 offset1:54
	ds_load_2addr_b32 v[0:1], v40 offset0:108 offset1:180
	v_mad_co_u64_u32 v[19:20], null, s4, v53, 0
	v_add_nc_u32_e32 v3, 0x400, v40
	s_mov_b32 s10, 0xc901e574
	s_mov_b32 s11, 0x3f5e573a
	s_wait_dscnt 0x1
	v_lshrrev_b32_e32 v6, 16, v4
	s_wait_dscnt 0x0
	v_lshrrev_b32_e32 v7, 16, v1
	v_mul_f16_e32 v2, v59, v4
	v_mul_f16_e32 v8, v58, v1
	;; [unrolled: 1-line block ×3, first 2 shown]
	s_delay_alu instid0(VALU_DEP_3)
	v_fma_f16 v9, v55, v6, -v2
	ds_load_2addr_b32 v[2:3], v3 offset0:104 offset1:158
	v_fma_f16 v6, v56, v7, -v8
	v_fmac_f16_e32 v10, v55, v4
	v_mul_f16_e32 v4, v58, v7
	v_cvt_f32_f16_e32 v8, v9
	s_delay_alu instid0(VALU_DEP_4) | instskip(NEXT) | instid1(VALU_DEP_4)
	v_cvt_f32_f16_e32 v9, v6
	v_cvt_f32_f16_e32 v10, v10
	s_delay_alu instid0(VALU_DEP_4) | instskip(NEXT) | instid1(VALU_DEP_4)
	v_fmac_f16_e32 v4, v56, v1
	v_cvt_f64_f32_e32 v[6:7], v8
	s_delay_alu instid0(VALU_DEP_4) | instskip(NEXT) | instid1(VALU_DEP_4)
	v_cvt_f64_f32_e32 v[8:9], v9
	v_cvt_f64_f32_e32 v[10:11], v10
	s_delay_alu instid0(VALU_DEP_4) | instskip(NEXT) | instid1(VALU_DEP_1)
	v_cvt_f32_f16_e32 v1, v4
	v_cvt_f64_f32_e32 v[12:13], v1
	s_wait_dscnt 0x0
	v_lshrrev_b32_e32 v4, 16, v2
	v_mul_f16_e32 v14, v57, v2
	s_delay_alu instid0(VALU_DEP_2) | instskip(NEXT) | instid1(VALU_DEP_2)
	v_mul_f16_e32 v1, v57, v4
	v_fma_f16 v4, v54, v4, -v14
	s_delay_alu instid0(VALU_DEP_2) | instskip(NEXT) | instid1(VALU_DEP_2)
	v_fmac_f16_e32 v1, v54, v2
	v_cvt_f32_f16_e32 v4, v4
	s_delay_alu instid0(VALU_DEP_2) | instskip(SKIP_1) | instid1(VALU_DEP_3)
	v_cvt_f32_f16_e32 v14, v1
	v_mad_co_u64_u32 v[1:2], null, s6, v18, 0
	v_cvt_f64_f32_e32 v[21:22], v4
	v_mov_b32_e32 v4, v20
	s_delay_alu instid0(VALU_DEP_4) | instskip(NEXT) | instid1(VALU_DEP_4)
	v_cvt_f64_f32_e32 v[14:15], v14
	v_mad_co_u64_u32 v[23:24], null, s7, v18, v[2:3]
	s_delay_alu instid0(VALU_DEP_3)
	v_mad_co_u64_u32 v[24:25], null, s5, v53, v[4:5]
	s_wait_alu 0xfffe
	v_mul_f64_e32 v[6:7], s[10:11], v[6:7]
	v_mul_f64_e32 v[8:9], s[10:11], v[8:9]
	;; [unrolled: 1-line block ×3, first 2 shown]
	v_lshrrev_b32_e32 v4, 16, v5
	v_mov_b32_e32 v20, v24
	v_mul_f64_e32 v[12:13], s[10:11], v[12:13]
	s_delay_alu instid0(VALU_DEP_2)
	v_lshlrev_b64_e32 v[18:19], 2, v[19:20]
	v_mul_f64_e32 v[20:21], s[10:11], v[21:22]
	v_mul_f64_e32 v[14:15], s[10:11], v[14:15]
	v_and_or_b32 v8, 0x1ff, v9, v8
	v_and_or_b32 v10, 0x1ff, v11, v10
	v_bfe_u32 v26, v11, 20, 11
	v_lshrrev_b32_e32 v25, 8, v11
	v_lshrrev_b32_e32 v22, 8, v9
	v_bfe_u32 v24, v9, 20, 11
	v_lshrrev_b32_e32 v11, 16, v11
	v_bfe_u32 v29, v13, 20, 11
	v_mov_b32_e32 v2, v23
	v_and_or_b32 v12, 0x1ff, v13, v12
	v_sub_nc_u32_e32 v31, 0x3f1, v26
	v_lshrrev_b32_e32 v28, 8, v13
	v_sub_nc_u32_e32 v30, 0x3f1, v24
	v_lshlrev_b64_e32 v[1:2], 2, v[1:2]
	v_add_nc_u32_e32 v26, 0xfffffc10, v26
	v_add_nc_u32_e32 v24, 0xfffffc10, v24
	v_mul_f16_e32 v23, v52, v4
	v_lshrrev_b32_e32 v13, 16, v13
	v_add_co_u32 v1, s0, s8, v1
	s_wait_alu 0xf1ff
	v_add_co_ci_u32_e64 v2, s0, s9, v2, s0
	v_fmac_f16_e32 v23, v51, v5
	s_delay_alu instid0(VALU_DEP_3)
	v_add_co_u32 v18, s0, v1, v18
	v_and_or_b32 v1, 0x1ff, v7, v6
	s_wait_alu 0xf1ff
	v_add_co_ci_u32_e64 v19, s0, v2, v19, s0
	v_lshrrev_b32_e32 v2, 8, v7
	v_bfe_u32 v6, v7, 20, 11
	v_cmp_ne_u32_e64 s0, 0, v1
	v_and_or_b32 v14, 0x1ff, v15, v14
	v_lshrrev_b32_e32 v7, 16, v7
	v_bfe_u32 v32, v15, 20, 11
	v_sub_nc_u32_e32 v27, 0x3f1, v6
	s_wait_alu 0xf1ff
	v_cndmask_b32_e64 v1, 0, 1, s0
	v_cmp_ne_u32_e64 s0, 0, v8
	v_add_nc_u32_e32 v6, 0xfffffc10, v6
	v_sub_nc_u32_e32 v35, 0x3f1, v32
	v_mul_f16_e32 v5, v52, v5
	v_and_or_b32 v1, 0xffe, v2, v1
	s_wait_alu 0xf1ff
	v_cndmask_b32_e64 v8, 0, 1, s0
	v_cmp_ne_u32_e64 s0, 0, v10
	v_med3_i32 v2, v27, 0, 13
	v_sub_nc_u32_e32 v27, 0x3f1, v29
	v_add_nc_u32_e32 v29, 0xfffffc10, v29
	v_lshl_or_b32 v33, v6, 12, v1
	s_wait_alu 0xf1ff
	v_cndmask_b32_e64 v10, 0, 1, s0
	v_cmp_ne_u32_e64 s0, 0, v12
	v_and_or_b32 v8, 0xffe, v22, v8
	v_med3_i32 v22, v30, 0, 13
	v_med3_i32 v27, v27, 0, 13
	v_and_or_b32 v10, 0xffe, v25, v10
	s_wait_alu 0xf1ff
	v_cndmask_b32_e64 v12, 0, 1, s0
	v_cmp_ne_u32_e64 s0, 0, v1
	v_med3_i32 v25, v31, 0, 13
	v_or_b32_e32 v31, 0x1000, v1
	v_or_b32_e32 v36, 0x1000, v10
	v_and_or_b32 v12, 0xffe, v28, v12
	s_wait_alu 0xf1ff
	v_cndmask_b32_e64 v1, 0, 1, s0
	v_cmp_ne_u32_e64 s0, 0, v14
	v_lshrrev_b32_e32 v38, v2, v31
	v_or_b32_e32 v28, 0x1000, v8
	v_lshl_or_b32 v37, v26, 12, v10
	v_lshrrev_b32_e32 v55, v25, v36
	s_wait_alu 0xf1ff
	v_cndmask_b32_e64 v14, 0, 1, s0
	v_cmp_ne_u32_e64 s0, 0, v10
	v_lshlrev_b32_e32 v2, v2, v38
	v_or_b32_e32 v39, 0x1000, v12
	v_lshl_or_b32 v53, v29, 12, v12
	v_lshrrev_b32_e32 v54, v22, v28
	s_wait_alu 0xf1ff
	v_cndmask_b32_e64 v10, 0, 1, s0
	v_cmp_ne_u32_e64 s0, 0, v12
	v_lshlrev_b32_e32 v25, v25, v55
	v_lshrrev_b32_e32 v56, v27, v39
	v_lshlrev_b32_e32 v22, v22, v54
	v_lshl_or_b32 v34, v24, 12, v8
	s_wait_alu 0xf1ff
	v_cndmask_b32_e64 v12, 0, 1, s0
	v_cmp_ne_u32_e64 s0, v2, v31
	v_lshlrev_b32_e32 v27, v27, v56
	v_lshl_or_b32 v10, v10, 9, 0x7c00
	v_lshl_or_b32 v1, v1, 9, 0x7c00
	;; [unrolled: 1-line block ×3, first 2 shown]
	s_wait_alu 0xf1ff
	v_cndmask_b32_e64 v2, 0, 1, s0
	v_cmp_ne_u32_e64 s0, v25, v36
	v_lshrrev_b32_e32 v30, 8, v15
	v_fma_f16 v4, v51, v4, -v5
	v_and_or_b32 v5, 0x1ff, v21, v20
	v_or_b32_e32 v2, v38, v2
	s_wait_alu 0xf1ff
	v_cndmask_b32_e64 v25, 0, 1, s0
	v_cmp_ne_u32_e64 s0, v22, v28
	v_cvt_f32_f16_e32 v4, v4
	v_lshrrev_b32_e32 v20, 8, v21
	v_lshrrev_b32_e32 v15, 16, v15
	v_or_b32_e32 v25, v55, v25
	s_wait_alu 0xf1ff
	v_cndmask_b32_e64 v22, 0, 1, s0
	v_cmp_ne_u32_e64 s0, v27, v39
	s_delay_alu instid0(VALU_DEP_2) | instskip(SKIP_1) | instid1(VALU_DEP_2)
	v_or_b32_e32 v22, v54, v22
	s_wait_alu 0xf1ff
	v_cndmask_b32_e64 v27, 0, 1, s0
	v_cmp_gt_i32_e64 s0, 1, v6
	s_delay_alu instid0(VALU_DEP_2) | instskip(SKIP_1) | instid1(VALU_DEP_2)
	v_or_b32_e32 v27, v56, v27
	s_wait_alu 0xf1ff
	v_cndmask_b32_e64 v2, v33, v2, s0
	v_cmp_gt_i32_e64 s0, 1, v26
	s_delay_alu instid0(VALU_DEP_2) | instskip(SKIP_1) | instid1(VALU_DEP_2)
	v_and_b32_e32 v28, 7, v2
	s_wait_alu 0xf1ff
	v_cndmask_b32_e64 v25, v37, v25, s0
	v_cmp_gt_i32_e64 s0, 1, v24
	v_lshrrev_b32_e32 v2, 2, v2
	v_cmp_lt_i32_e64 s2, 5, v28
	s_delay_alu instid0(VALU_DEP_4)
	v_and_b32_e32 v31, 7, v25
	s_wait_alu 0xf1ff
	v_cndmask_b32_e64 v22, v34, v22, s0
	v_cmp_gt_i32_e64 s0, 1, v29
	v_lshrrev_b32_e32 v25, 2, v25
	v_cmp_eq_u32_e64 s3, 3, v28
	v_cmp_eq_u32_e64 s1, 3, v31
	s_wait_alu 0xf1ff
	v_cndmask_b32_e64 v27, v53, v27, s0
	v_cmp_lt_i32_e64 s0, 5, v31
	s_delay_alu instid0(VALU_DEP_2) | instskip(NEXT) | instid1(VALU_DEP_2)
	v_and_b32_e32 v28, 7, v27
	s_or_b32 s0, s1, s0
	v_cmp_gt_i32_e64 s1, 31, v26
	s_wait_alu 0xfffe
	v_add_co_ci_u32_e64 v25, s0, 0, v25, s0
	s_or_b32 s0, s3, s2
	v_cmp_gt_i32_e64 s2, 31, v6
	s_wait_alu 0xfffe
	v_add_co_ci_u32_e64 v2, s0, 0, v2, s0
	v_cmp_lt_i32_e64 s0, 5, v28
	v_cndmask_b32_e64 v25, 0x7c00, v25, s1
	v_cmp_eq_u32_e64 s1, 3, v28
	v_lshrrev_b32_e32 v27, 2, v27
	s_wait_alu 0xf1ff
	v_cndmask_b32_e64 v2, 0x7c00, v2, s2
	v_cmp_eq_u32_e64 s2, 0x40f, v26
	s_or_b32 s0, s1, s0
	v_cmp_eq_u32_e64 s1, 0x40f, v29
	s_delay_alu instid0(VALU_DEP_2)
	v_cndmask_b32_e64 v10, v25, v10, s2
	s_wait_alu 0xfffe
	v_add_co_ci_u32_e64 v25, s0, 0, v27, s0
	v_cmp_eq_u32_e64 s0, 0x40f, v6
	v_and_b32_e32 v6, 7, v22
	s_mul_u64 s[2:3], s[4:5], 0xb4
	s_wait_alu 0xfffe
	s_lshl_b64 s[12:13], s[2:3], 2
	v_cndmask_b32_e64 v1, v2, v1, s0
	v_cmp_gt_i32_e64 s0, 31, v29
	v_and_or_b32 v2, 0x8000, v11, v10
	v_and_or_b32 v11, 0xffe, v30, v14
	s_delay_alu instid0(VALU_DEP_4) | instskip(SKIP_4) | instid1(VALU_DEP_3)
	v_and_or_b32 v1, 0x8000, v7, v1
	s_wait_alu 0xf1ff
	v_cndmask_b32_e64 v10, 0x7c00, v25, s0
	v_and_b32_e32 v2, 0xffff, v2
	v_cmp_lt_i32_e64 s0, 5, v6
	v_cndmask_b32_e64 v7, v10, v12, s1
	v_cmp_eq_u32_e64 s1, 3, v6
	s_delay_alu instid0(VALU_DEP_4)
	v_lshl_or_b32 v25, v1, 16, v2
	v_cvt_f32_f16_e32 v1, v23
	v_lshrrev_b32_e32 v6, 2, v22
	v_or_b32_e32 v10, 0x1000, v11
	s_or_b32 s0, s1, s0
	v_med3_i32 v12, v35, 0, 13
	v_cvt_f64_f32_e32 v[1:2], v1
	s_wait_alu 0xfffe
	v_add_co_ci_u32_e64 v6, s0, 0, v6, s0
	v_cmp_ne_u32_e64 s0, 0, v8
	v_lshrrev_b32_e32 v14, v12, v10
	v_and_or_b32 v13, 0x8000, v13, v7
	v_bfe_u32 v22, v21, 20, 11
	v_lshrrev_b32_e32 v21, 16, v21
	s_wait_alu 0xf1ff
	v_cndmask_b32_e64 v8, 0, 1, s0
	v_cmp_gt_i32_e64 s0, 31, v24
	v_lshlrev_b32_e32 v7, v12, v14
	v_add_nc_u32_e32 v12, 0xfffffc10, v32
	v_and_b32_e32 v13, 0xffff, v13
	v_lshl_or_b32 v8, v8, 9, 0x7c00
	s_wait_alu 0xf1ff
	v_cndmask_b32_e64 v6, 0x7c00, v6, s0
	v_cmp_eq_u32_e64 s0, 0x40f, v24
	s_wait_alu 0xf1ff
	s_delay_alu instid0(VALU_DEP_1) | instskip(SKIP_2) | instid1(VALU_DEP_1)
	v_cndmask_b32_e64 v8, v6, v8, s0
	v_cmp_ne_u32_e64 s0, v7, v10
	s_wait_alu 0xf1ff
	v_cndmask_b32_e64 v7, 0, 1, s0
	v_cmp_ne_u32_e64 s0, 0, v5
	v_cvt_f64_f32_e32 v[5:6], v4
	v_lshrrev_b32_e32 v4, 16, v9
	v_lshl_or_b32 v9, v12, 12, v11
	v_or_b32_e32 v7, v14, v7
	s_wait_alu 0xf1ff
	v_cndmask_b32_e64 v10, 0, 1, s0
	v_cmp_gt_i32_e64 s0, 1, v12
	s_delay_alu instid0(VALU_DEP_2) | instskip(SKIP_2) | instid1(VALU_DEP_3)
	v_and_or_b32 v14, 0xffe, v20, v10
	v_sub_nc_u32_e32 v10, 0x3f1, v22
	s_wait_alu 0xf1ff
	v_cndmask_b32_e64 v9, v9, v7, s0
	v_and_or_b32 v20, 0x8000, v4, v8
	v_mul_f64_e32 v[7:8], s[10:11], v[1:2]
	v_or_b32_e32 v23, 0x1000, v14
	v_med3_i32 v10, v10, 0, 13
	v_and_b32_e32 v24, 7, v9
	v_add_nc_u32_e32 v4, 0x200, v40
	v_lshrrev_b32_e32 v9, 2, v9
	v_lshl_or_b32 v20, v20, 16, v13
	v_lshrrev_b32_e32 v26, v10, v23
	v_cmp_lt_i32_e64 s0, 5, v24
	v_cmp_eq_u32_e64 s1, 3, v24
	ds_load_2addr_b32 v[1:2], v4 offset0:106 offset1:160
	v_add_nc_u32_e32 v13, 0xfffffc10, v22
	v_lshlrev_b32_e32 v10, v10, v26
	s_or_b32 s0, s1, s0
	s_wait_alu 0xfffe
	v_add_co_ci_u32_e64 v9, s0, 0, v9, s0
	s_delay_alu instid0(VALU_DEP_2) | instskip(SKIP_1) | instid1(VALU_DEP_1)
	v_cmp_ne_u32_e64 s0, v10, v23
	s_wait_alu 0xf1ff
	v_cndmask_b32_e64 v10, 0, 1, s0
	v_cmp_ne_u32_e64 s0, 0, v11
	v_mul_f64_e32 v[5:6], s[10:11], v[5:6]
	s_wait_alu 0xf1ff
	s_delay_alu instid0(VALU_DEP_2) | instskip(SKIP_3) | instid1(VALU_DEP_3)
	v_cndmask_b32_e64 v11, 0, 1, s0
	v_cmp_gt_i32_e64 s0, 31, v12
	s_wait_dscnt 0x0
	v_lshrrev_b32_e32 v23, 16, v1
	v_lshl_or_b32 v11, v11, 9, 0x7c00
	s_wait_alu 0xf1ff
	v_cndmask_b32_e64 v22, 0x7c00, v9, s0
	v_or_b32_e32 v9, v26, v10
	v_lshl_or_b32 v10, v13, 12, v14
	v_cmp_gt_i32_e64 s0, 1, v13
	v_mul_f16_e32 v26, v50, v23
	v_and_or_b32 v7, 0x1ff, v8, v7
	s_wait_alu 0xf1ff
	s_delay_alu instid0(VALU_DEP_3)
	v_cndmask_b32_e64 v24, v10, v9, s0
	v_add_co_u32 v9, s0, v18, s12
	s_wait_alu 0xf1ff
	v_add_co_ci_u32_e64 v10, s0, s13, v19, s0
	v_fmac_f16_e32 v26, v49, v1
	v_cmp_eq_u32_e64 s0, 0x40f, v12
	v_and_b32_e32 v27, 7, v24
	v_cmp_ne_u32_e64 s2, 0, v7
	v_mul_f16_e32 v1, v50, v1
	s_clause 0x1
	global_store_b32 v[18:19], v25, off
	global_store_b32 v[9:10], v20, off
	s_wait_alu 0xf1ff
	v_cndmask_b32_e64 v22, v22, v11, s0
	v_cvt_f32_f16_e32 v11, v26
	v_cmp_lt_i32_e64 s0, 5, v27
	v_cmp_eq_u32_e64 s1, 3, v27
	v_cndmask_b32_e64 v7, 0, 1, s2
	v_and_or_b32 v15, 0x8000, v15, v22
	v_cvt_f64_f32_e32 v[11:12], v11
	v_lshrrev_b32_e32 v22, 2, v24
	v_lshrrev_b32_e32 v26, 8, v8
	v_bfe_u32 v24, v8, 20, 11
	s_or_b32 s0, s1, s0
	v_fma_f16 v1, v49, v23, -v1
	s_wait_alu 0xfffe
	v_add_co_ci_u32_e64 v22, s0, 0, v22, s0
	v_and_or_b32 v7, 0xffe, v26, v7
	v_sub_nc_u32_e32 v26, 0x3f1, v24
	v_cmp_ne_u32_e64 s0, 0, v14
	v_and_or_b32 v5, 0x1ff, v6, v5
	v_cvt_f32_f16_e32 v1, v1
	v_or_b32_e32 v27, 0x1000, v7
	v_med3_i32 v26, v26, 0, 13
	s_wait_alu 0xf1ff
	v_cndmask_b32_e64 v14, 0, 1, s0
	v_cmp_gt_i32_e64 s0, 31, v13
	v_lshrrev_b32_e32 v28, 8, v6
	v_add_nc_u32_e32 v24, 0xfffffc10, v24
	v_lshrrev_b32_e32 v23, v26, v27
	v_lshl_or_b32 v14, v14, 9, 0x7c00
	s_wait_alu 0xf1ff
	v_cndmask_b32_e64 v22, 0x7c00, v22, s0
	v_cmp_eq_u32_e64 s0, 0x40f, v13
	v_and_b32_e32 v15, 0xffff, v15
	v_lshlrev_b32_e32 v26, v26, v23
	s_wait_alu 0xf1ff
	s_delay_alu instid0(VALU_DEP_3) | instskip(SKIP_3) | instid1(VALU_DEP_4)
	v_cndmask_b32_e64 v22, v22, v14, s0
	v_cmp_ne_u32_e64 s0, 0, v5
	v_cvt_f64_f32_e32 v[13:14], v1
	v_bfe_u32 v1, v6, 20, 11
	v_and_or_b32 v21, 0x8000, v21, v22
	s_wait_alu 0xf1ff
	v_cndmask_b32_e64 v5, 0, 1, s0
	v_cmp_ne_u32_e64 s0, v26, v27
	v_sub_nc_u32_e32 v27, 0x3f1, v1
	v_add_nc_u32_e32 v1, 0xfffffc10, v1
	v_lshl_or_b32 v15, v21, 16, v15
	v_and_or_b32 v5, 0xffe, v28, v5
	s_wait_alu 0xf1ff
	v_cndmask_b32_e64 v26, 0, 1, s0
	v_cmp_gt_i32_e64 s0, 1, v24
	v_mul_f64_e32 v[11:12], s[10:11], v[11:12]
	v_med3_i32 v27, v27, 0, 13
	v_or_b32_e32 v28, 0x1000, v5
	v_or_b32_e32 v23, v23, v26
	v_lshl_or_b32 v26, v24, 12, v7
	v_lshl_or_b32 v20, v1, 12, v5
	v_lshrrev_b32_e32 v21, 16, v3
	s_wait_alu 0xf1ff
	s_delay_alu instid0(VALU_DEP_3)
	v_cndmask_b32_e64 v22, v26, v23, s0
	v_lshrrev_b32_e32 v23, v27, v28
	v_add_co_u32 v9, s0, v9, s12
	s_wait_alu 0xf1ff
	v_add_co_ci_u32_e64 v10, s0, s13, v10, s0
	v_and_b32_e32 v18, 7, v22
	v_lshlrev_b32_e32 v19, v27, v23
	s_delay_alu instid0(VALU_DEP_2) | instskip(SKIP_2) | instid1(VALU_DEP_4)
	v_cmp_lt_i32_e64 s0, 5, v18
	v_cmp_eq_u32_e64 s1, 3, v18
	v_lshrrev_b32_e32 v18, 2, v22
	v_cmp_ne_u32_e64 s2, v19, v28
	s_delay_alu instid0(VALU_DEP_3)
	s_or_b32 s0, s1, s0
	v_mul_f64_e32 v[13:14], s[10:11], v[13:14]
	s_wait_alu 0xfffe
	v_add_co_ci_u32_e64 v18, s0, 0, v18, s0
	v_cndmask_b32_e64 v19, 0, 1, s2
	v_cmp_ne_u32_e64 s0, 0, v7
	s_delay_alu instid0(VALU_DEP_2) | instskip(SKIP_1) | instid1(VALU_DEP_2)
	v_or_b32_e32 v19, v23, v19
	s_wait_alu 0xf1ff
	v_cndmask_b32_e64 v7, 0, 1, s0
	v_cmp_gt_i32_e64 s0, 1, v1
	v_and_or_b32 v11, 0x1ff, v12, v11
	v_lshrrev_b32_e32 v23, 16, v8
	s_delay_alu instid0(VALU_DEP_4)
	v_lshl_or_b32 v7, v7, 9, 0x7c00
	s_wait_alu 0xf1ff
	v_cndmask_b32_e64 v19, v20, v19, s0
	v_mul_f16_e32 v20, v48, v21
	v_cmp_gt_i32_e64 s0, 31, v24
	v_cmp_ne_u32_e64 s1, 0, v11
	s_delay_alu instid0(VALU_DEP_4) | instskip(NEXT) | instid1(VALU_DEP_4)
	v_and_b32_e32 v22, 7, v19
	v_fmac_f16_e32 v20, v47, v3
	s_wait_alu 0xf1ff
	v_cndmask_b32_e64 v18, 0x7c00, v18, s0
	v_cmp_eq_u32_e64 s0, 0x40f, v24
	v_cndmask_b32_e64 v11, 0, 1, s1
	v_cmp_eq_u32_e64 s1, 3, v22
	v_lshrrev_b32_e32 v19, 2, v19
	v_bfe_u32 v24, v12, 20, 11
	s_wait_alu 0xf1ff
	v_cndmask_b32_e64 v18, v18, v7, s0
	v_cvt_f32_f16_e32 v7, v20
	v_cmp_lt_i32_e64 s0, 5, v22
	v_lshrrev_b32_e32 v20, 8, v12
	v_mul_f16_e32 v3, v48, v3
	v_and_or_b32 v18, 0x8000, v23, v18
	v_cvt_f64_f32_e32 v[7:8], v7
	s_or_b32 s0, s1, s0
	v_and_or_b32 v11, 0xffe, v20, v11
	s_wait_alu 0xfffe
	v_add_co_ci_u32_e64 v19, s0, 0, v19, s0
	v_sub_nc_u32_e32 v20, 0x3f1, v24
	v_cmp_ne_u32_e64 s0, 0, v5
	v_or_b32_e32 v22, 0x1000, v11
	v_fma_f16 v3, v47, v21, -v3
	v_and_or_b32 v13, 0x1ff, v14, v13
	v_med3_i32 v20, v20, 0, 13
	s_wait_alu 0xf1ff
	v_cndmask_b32_e64 v5, 0, 1, s0
	v_cmp_gt_i32_e64 s0, 31, v1
	v_cvt_f32_f16_e32 v3, v3
	v_lshrrev_b32_e32 v21, 8, v14
	v_lshrrev_b32_e32 v23, v20, v22
	v_lshl_or_b32 v5, v5, 9, 0x7c00
	s_wait_alu 0xf1ff
	v_cndmask_b32_e64 v19, 0x7c00, v19, s0
	v_cmp_eq_u32_e64 s0, 0x40f, v1
	v_bfe_u32 v25, v14, 20, 11
	v_lshlrev_b32_e32 v20, v20, v23
	v_and_b32_e32 v18, 0xffff, v18
	v_lshrrev_b32_e32 v12, 16, v12
	s_wait_alu 0xf1ff
	v_cndmask_b32_e64 v1, v19, v5, s0
	v_cmp_ne_u32_e64 s0, 0, v13
	v_lshrrev_b32_e32 v19, 16, v6
	v_cvt_f64_f32_e32 v[5:6], v3
	v_lshrrev_b32_e32 v14, 16, v14
	s_wait_alu 0xf1ff
	v_cndmask_b32_e64 v13, 0, 1, s0
	v_cmp_ne_u32_e64 s0, v20, v22
	v_add_nc_u32_e32 v22, 0xfffffc10, v24
	v_and_or_b32 v1, 0x8000, v19, v1
	v_sub_nc_u32_e32 v19, 0x3f1, v25
	v_and_or_b32 v13, 0xffe, v21, v13
	s_wait_alu 0xf1ff
	v_cndmask_b32_e64 v3, 0, 1, s0
	v_lshl_or_b32 v20, v22, 12, v11
	v_cmp_gt_i32_e64 s0, 1, v22
	v_mul_f64_e32 v[7:8], s[10:11], v[7:8]
	v_or_b32_e32 v21, 0x1000, v13
	v_or_b32_e32 v3, v23, v3
	v_med3_i32 v19, v19, 0, 13
	v_lshl_or_b32 v24, v1, 16, v18
	v_add_nc_u32_e32 v25, 0xfffffc10, v25
	s_wait_alu 0xf1ff
	v_cndmask_b32_e64 v3, v20, v3, s0
	v_lshrrev_b32_e32 v20, v19, v21
	s_movk_i32 s0, 0xfece
	s_mov_b32 s1, -1
	s_delay_alu instid0(VALU_DEP_2)
	v_and_b32_e32 v23, 7, v3
	s_wait_alu 0xfffe
	s_mul_u64 s[0:1], s[4:5], s[0:1]
	v_lshlrev_b32_e32 v1, v19, v20
	s_wait_alu 0xfffe
	s_lshl_b64 s[4:5], s[0:1], 2
	v_lshrrev_b32_e32 v3, 2, v3
	v_cmp_lt_i32_e64 s0, 5, v23
	v_cmp_eq_u32_e64 s1, 3, v23
	v_lshrrev_b32_e32 v23, 16, v0
	v_cmp_ne_u32_e64 s2, v1, v21
	v_lshl_or_b32 v19, v25, 12, v13
	s_delay_alu instid0(VALU_DEP_4) | instskip(NEXT) | instid1(VALU_DEP_3)
	s_or_b32 s0, s1, s0
	v_mul_f16_e32 v18, v46, v23
	s_wait_alu 0xfffe
	v_add_co_ci_u32_e64 v3, s0, 0, v3, s0
	v_cndmask_b32_e64 v1, 0, 1, s2
	v_cmp_ne_u32_e64 s0, 0, v11
	v_fmac_f16_e32 v18, v45, v0
	v_mul_f64_e32 v[5:6], s[10:11], v[5:6]
	s_delay_alu instid0(VALU_DEP_4)
	v_or_b32_e32 v1, v20, v1
	s_wait_alu 0xf1ff
	v_cndmask_b32_e64 v11, 0, 1, s0
	v_cmp_gt_i32_e64 s0, 1, v25
	v_cvt_f32_f16_e32 v18, v18
	v_and_or_b32 v7, 0x1ff, v8, v7
	s_wait_alu 0xf1ff
	s_delay_alu instid0(VALU_DEP_3)
	v_cndmask_b32_e64 v1, v19, v1, s0
	v_cmp_gt_i32_e64 s0, 31, v22
	v_cvt_f64_f32_e32 v[18:19], v18
	v_lshl_or_b32 v11, v11, 9, 0x7c00
	v_cmp_ne_u32_e64 s1, 0, v7
	v_and_b32_e32 v26, 7, v1
	s_wait_alu 0xf1ff
	v_cndmask_b32_e64 v3, 0x7c00, v3, s0
	v_add_co_u32 v20, s0, v9, s4
	s_wait_alu 0xf1ff
	v_add_co_ci_u32_e64 v21, s0, s5, v10, s0
	v_cmp_eq_u32_e64 s0, 0x40f, v22
	v_cndmask_b32_e64 v7, 0, 1, s1
	v_cmp_eq_u32_e64 s1, 3, v26
	v_lshrrev_b32_e32 v1, 2, v1
	v_bfe_u32 v22, v8, 20, 11
	s_wait_alu 0xf1ff
	v_cndmask_b32_e64 v3, v3, v11, s0
	v_cmp_lt_i32_e64 s0, 5, v26
	v_lshrrev_b32_e32 v11, 8, v8
	s_clause 0x1
	global_store_b32 v[9:10], v15, off
	global_store_b32 v[20:21], v24, off
	v_lshrrev_b32_e32 v8, 16, v8
	v_and_or_b32 v3, 0x8000, v12, v3
	s_or_b32 s0, s1, s0
	v_and_or_b32 v7, 0xffe, v11, v7
	s_wait_alu 0xfffe
	v_add_co_ci_u32_e64 v1, s0, 0, v1, s0
	v_cmp_ne_u32_e64 s0, 0, v13
	v_sub_nc_u32_e32 v11, 0x3f1, v22
	v_or_b32_e32 v26, 0x1000, v7
	v_and_or_b32 v5, 0x1ff, v6, v5
	v_lshrrev_b32_e32 v27, 8, v6
	s_wait_alu 0xf1ff
	v_cndmask_b32_e64 v13, 0, 1, s0
	v_cmp_gt_i32_e64 s0, 31, v25
	v_med3_i32 v11, v11, 0, 13
	v_bfe_u32 v28, v6, 20, 11
	v_and_b32_e32 v3, 0xffff, v3
	v_lshl_or_b32 v13, v13, 9, 0x7c00
	s_wait_alu 0xf1ff
	v_cndmask_b32_e64 v1, 0x7c00, v1, s0
	v_cmp_eq_u32_e64 s0, 0x40f, v25
	v_lshrrev_b32_e32 v12, v11, v26
	v_mul_f16_e32 v25, v46, v0
	v_lshrrev_b32_e32 v6, 16, v6
	s_wait_alu 0xf1ff
	v_cndmask_b32_e64 v13, v1, v13, s0
	v_cmp_ne_u32_e64 s0, 0, v5
	v_lshlrev_b32_e32 v11, v11, v12
	v_mul_f64_e32 v[0:1], s[10:11], v[18:19]
	v_fma_f16 v18, v45, v23, -v25
	v_add_nc_u32_e32 v19, 0xfffffc10, v22
	s_wait_alu 0xf1ff
	v_cndmask_b32_e64 v5, 0, 1, s0
	v_cmp_ne_u32_e64 s0, v11, v26
	v_sub_nc_u32_e32 v22, 0x3f1, v28
	v_cvt_f32_f16_e32 v18, v18
	v_lshl_or_b32 v25, v19, 12, v7
	v_and_or_b32 v5, 0xffe, v27, v5
	s_wait_alu 0xf1ff
	v_cndmask_b32_e64 v11, 0, 1, s0
	v_med3_i32 v22, v22, 0, 13
	v_and_or_b32 v13, 0x8000, v14, v13
	v_cmp_gt_i32_e64 s0, 1, v19
	v_or_b32_e32 v26, 0x1000, v5
	v_or_b32_e32 v23, v12, v11
	v_cvt_f64_f32_e32 v[11:12], v18
	v_lshl_or_b32 v15, v13, 16, v3
	v_cmp_eq_u32_e64 s2, 0x40f, v19
	v_lshrrev_b32_e32 v18, v22, v26
	s_wait_alu 0xf1ff
	v_cndmask_b32_e64 v14, v25, v23, s0
	v_add_co_u32 v9, s0, v20, s12
	v_lshrrev_b32_e32 v20, 16, v2
	v_lshlrev_b32_e32 v13, v22, v18
	s_delay_alu instid0(VALU_DEP_4)
	v_and_b32_e32 v3, 7, v14
	s_wait_alu 0xf1ff
	v_add_co_ci_u32_e64 v10, s0, s13, v21, s0
	v_add_nc_u32_e32 v21, 0xfffffc10, v28
	v_cmp_ne_u32_e64 s1, v13, v26
	v_cmp_lt_i32_e64 s0, 5, v3
	v_mul_f16_e32 v22, v44, v20
	s_wait_alu 0xf1ff
	s_delay_alu instid0(VALU_DEP_3)
	v_cndmask_b32_e64 v13, 0, 1, s1
	v_cmp_eq_u32_e64 s1, 3, v3
	v_lshrrev_b32_e32 v3, 2, v14
	v_lshl_or_b32 v14, v21, 12, v5
	v_fmac_f16_e32 v22, v42, v2
	v_or_b32_e32 v13, v18, v13
	s_or_b32 s0, s1, s0
	v_and_or_b32 v0, 0x1ff, v1, v0
	s_wait_alu 0xfffe
	v_add_co_ci_u32_e64 v3, s0, 0, v3, s0
	v_cmp_gt_i32_e64 s0, 1, v21
	v_cvt_f32_f16_e32 v18, v22
	v_lshrrev_b32_e32 v23, 8, v1
	s_wait_alu 0xf1ff
	s_delay_alu instid0(VALU_DEP_3)
	v_cndmask_b32_e64 v22, v14, v13, s0
	v_cmp_ne_u32_e64 s0, 0, v0
	v_cvt_f64_f32_e32 v[13:14], v18
	v_bfe_u32 v18, v1, 20, 11
	v_lshrrev_b32_e32 v1, 16, v1
	v_mul_f64_e32 v[11:12], s[10:11], v[11:12]
	s_wait_alu 0xf1ff
	v_cndmask_b32_e64 v0, 0, 1, s0
	v_cmp_ne_u32_e64 s0, 0, v7
	v_and_b32_e32 v24, 7, v22
	v_lshrrev_b32_e32 v22, 2, v22
	s_delay_alu instid0(VALU_DEP_4)
	v_and_or_b32 v0, 0xffe, v23, v0
	s_wait_alu 0xf1ff
	v_cndmask_b32_e64 v7, 0, 1, s0
	v_cmp_gt_i32_e64 s0, 31, v19
	v_sub_nc_u32_e32 v23, 0x3f1, v18
	v_cmp_eq_u32_e64 s1, 3, v24
	v_or_b32_e32 v25, 0x1000, v0
	v_lshl_or_b32 v7, v7, 9, 0x7c00
	s_wait_alu 0xf1ff
	v_cndmask_b32_e64 v3, 0x7c00, v3, s0
	v_cmp_lt_i32_e64 s0, 5, v24
	v_med3_i32 v23, v23, 0, 13
	v_add_nc_u32_e32 v18, 0xfffffc10, v18
	s_delay_alu instid0(VALU_DEP_4) | instskip(NEXT) | instid1(VALU_DEP_4)
	v_cndmask_b32_e64 v3, v3, v7, s2
	s_or_b32 s0, s1, s0
	s_delay_alu instid0(VALU_DEP_3)
	v_lshrrev_b32_e32 v7, v23, v25
	s_wait_alu 0xfffe
	v_add_co_ci_u32_e64 v19, s0, 0, v22, s0
	v_cmp_ne_u32_e64 s0, 0, v5
	v_and_or_b32 v8, 0x8000, v8, v3
	v_lshlrev_b32_e32 v22, v23, v7
	s_wait_alu 0xf1ff
	s_delay_alu instid0(VALU_DEP_3) | instskip(SKIP_2) | instid1(VALU_DEP_3)
	v_cndmask_b32_e64 v5, 0, 1, s0
	v_cmp_gt_i32_e64 s0, 31, v21
	v_and_b32_e32 v8, 0xffff, v8
	v_lshl_or_b32 v5, v5, 9, 0x7c00
	s_wait_alu 0xf1ff
	s_delay_alu instid0(VALU_DEP_3) | instskip(SKIP_3) | instid1(VALU_DEP_2)
	v_cndmask_b32_e64 v19, 0x7c00, v19, s0
	v_cmp_ne_u32_e64 s0, v22, v25
	v_and_or_b32 v11, 0x1ff, v12, v11
	s_wait_alu 0xf1ff
	v_cndmask_b32_e64 v3, 0, 1, s0
	v_cmp_eq_u32_e64 s0, 0x40f, v21
	v_mul_f16_e32 v21, v44, v2
	s_delay_alu instid0(VALU_DEP_3) | instskip(SKIP_1) | instid1(VALU_DEP_3)
	v_or_b32_e32 v7, v7, v3
	s_wait_alu 0xf1ff
	v_cndmask_b32_e64 v5, v19, v5, s0
	ds_load_b32 v19, v40 offset:1872
	v_mul_f64_e32 v[2:3], s[10:11], v[13:14]
	v_lshl_or_b32 v13, v18, 12, v0
	v_cmp_gt_i32_e64 s0, 1, v18
	v_fma_f16 v14, v42, v20, -v21
	v_and_or_b32 v21, 0x8000, v6, v5
	v_bfe_u32 v20, v12, 20, 11
	s_wait_alu 0xf1ff
	v_cndmask_b32_e64 v7, v13, v7, s0
	v_cmp_ne_u32_e64 s0, 0, v11
	v_cvt_f32_f16_e32 v13, v14
	v_lshrrev_b32_e32 v14, 8, v12
	v_lshl_or_b32 v21, v21, 16, v8
	v_and_b32_e32 v22, 7, v7
	s_wait_alu 0xf1ff
	v_cndmask_b32_e64 v11, 0, 1, s0
	v_cvt_f64_f32_e32 v[5:6], v13
	v_sub_nc_u32_e32 v13, 0x3f1, v20
	v_lshrrev_b32_e32 v7, 2, v7
	v_cmp_lt_i32_e64 s0, 5, v22
	v_and_or_b32 v11, 0xffe, v14, v11
	s_wait_dscnt 0x0
	v_lshrrev_b32_e32 v14, 16, v19
	v_cmp_eq_u32_e64 s1, 3, v22
	v_med3_i32 v13, v13, 0, 13
	v_add_nc_u32_e32 v20, 0xfffffc10, v20
	v_or_b32_e32 v23, 0x1000, v11
	v_mul_f16_e32 v24, v43, v14
	s_or_b32 s0, s1, s0
	v_lshrrev_b32_e32 v12, 16, v12
	s_wait_alu 0xfffe
	v_add_co_ci_u32_e64 v7, s0, 0, v7, s0
	v_fmac_f16_e32 v24, v41, v19
	v_cmp_ne_u32_e64 s0, 0, v0
	v_lshrrev_b32_e32 v22, v13, v23
	v_mul_f16_e32 v19, v43, v19
	s_delay_alu instid0(VALU_DEP_4)
	v_cvt_f32_f16_e32 v8, v24
	s_wait_alu 0xf1ff
	v_cndmask_b32_e64 v0, 0, 1, s0
	v_cmp_gt_i32_e64 s0, 31, v18
	v_lshlrev_b32_e32 v13, v13, v22
	v_and_or_b32 v2, 0x1ff, v3, v2
	v_fma_f16 v14, v41, v14, -v19
	v_lshl_or_b32 v19, v20, 12, v11
	s_wait_alu 0xf1ff
	v_cndmask_b32_e64 v24, 0x7c00, v7, s0
	v_cvt_f64_f32_e32 v[7:8], v8
	v_cmp_ne_u32_e64 s0, v13, v23
	v_lshrrev_b32_e32 v23, 8, v3
	v_lshl_or_b32 v0, v0, 9, 0x7c00
	v_cvt_f32_f16_e32 v14, v14
	s_wait_alu 0xf1ff
	v_cndmask_b32_e64 v13, 0, 1, s0
	v_cmp_ne_u32_e64 s0, 0, v2
	v_mul_f64_e32 v[5:6], s[10:11], v[5:6]
	s_delay_alu instid0(VALU_DEP_3) | instskip(SKIP_1) | instid1(VALU_DEP_3)
	v_or_b32_e32 v13, v22, v13
	s_wait_alu 0xf1ff
	v_cndmask_b32_e64 v2, 0, 1, s0
	v_bfe_u32 v22, v3, 20, 11
	v_cmp_gt_i32_e64 s0, 1, v20
	v_lshrrev_b32_e32 v3, 16, v3
	s_delay_alu instid0(VALU_DEP_4) | instskip(NEXT) | instid1(VALU_DEP_4)
	v_and_or_b32 v2, 0xffe, v23, v2
	v_sub_nc_u32_e32 v23, 0x3f1, v22
	s_wait_alu 0xf1ff
	v_cndmask_b32_e64 v25, v19, v13, s0
	v_cmp_eq_u32_e64 s0, 0x40f, v18
	v_cvt_f64_f32_e32 v[13:14], v14
	v_or_b32_e32 v26, 0x1000, v2
	v_med3_i32 v23, v23, 0, 13
	v_add_nc_u32_e32 v22, 0xfffffc10, v22
	s_wait_alu 0xf1ff
	v_cndmask_b32_e64 v0, v24, v0, s0
	v_and_b32_e32 v24, 7, v25
	v_add_co_u32 v18, s0, v9, s12
	v_lshrrev_b32_e32 v27, v23, v26
	s_wait_alu 0xf1ff
	v_add_co_ci_u32_e64 v19, s0, s13, v10, s0
	v_cmp_lt_i32_e64 s0, 5, v24
	v_cmp_eq_u32_e64 s1, 3, v24
	v_lshrrev_b32_e32 v24, 2, v25
	v_lshlrev_b32_e32 v23, v23, v27
	v_and_or_b32 v28, 0x8000, v1, v0
	s_delay_alu instid0(VALU_DEP_4)
	s_or_b32 s0, s1, s0
	v_mul_f64_e32 v[0:1], s[10:11], v[7:8]
	s_wait_alu 0xfffe
	v_add_co_ci_u32_e64 v7, s0, 0, v24, s0
	v_cmp_ne_u32_e64 s2, v23, v26
	v_cmp_ne_u32_e64 s0, 0, v11
	s_wait_alu 0xf1ff
	s_delay_alu instid0(VALU_DEP_2) | instskip(NEXT) | instid1(VALU_DEP_2)
	v_cndmask_b32_e64 v23, 0, 1, s2
	v_cndmask_b32_e64 v8, 0, 1, s0
	v_cmp_gt_i32_e64 s0, 31, v20
	v_and_or_b32 v5, 0x1ff, v6, v5
	v_lshrrev_b32_e32 v24, 8, v6
	v_or_b32_e32 v11, v27, v23
	v_lshl_or_b32 v23, v22, 12, v2
	s_wait_alu 0xf1ff
	v_cndmask_b32_e64 v7, 0x7c00, v7, s0
	v_cmp_gt_i32_e64 s0, 1, v22
	v_lshl_or_b32 v8, v8, 9, 0x7c00
	s_wait_alu 0xf1ff
	s_delay_alu instid0(VALU_DEP_2) | instskip(SKIP_1) | instid1(VALU_DEP_2)
	v_cndmask_b32_e64 v11, v23, v11, s0
	v_cmp_eq_u32_e64 s0, 0x40f, v20
	v_and_b32_e32 v23, 7, v11
	s_wait_alu 0xf1ff
	s_delay_alu instid0(VALU_DEP_2)
	v_cndmask_b32_e64 v20, v7, v8, s0
	v_cmp_ne_u32_e64 s0, 0, v5
	v_mul_f64_e32 v[7:8], s[10:11], v[13:14]
	v_bfe_u32 v13, v6, 20, 11
	v_cmp_eq_u32_e64 s1, 3, v23
	v_lshrrev_b32_e32 v11, 2, v11
	s_wait_alu 0xf1ff
	v_cndmask_b32_e64 v5, 0, 1, s0
	v_cmp_lt_i32_e64 s0, 5, v23
	v_and_or_b32 v12, 0x8000, v12, v20
	v_and_b32_e32 v14, 0xffff, v28
	v_sub_nc_u32_e32 v20, 0x3f1, v13
	v_and_or_b32 v5, 0xffe, v24, v5
	s_or_b32 s0, s1, s0
	v_and_or_b32 v0, 0x1ff, v1, v0
	s_wait_alu 0xfffe
	v_add_co_ci_u32_e64 v11, s0, 0, v11, s0
	v_lshl_or_b32 v12, v12, 16, v14
	v_or_b32_e32 v14, 0x1000, v5
	v_med3_i32 v20, v20, 0, 13
	v_cmp_ne_u32_e64 s0, 0, v2
	v_lshrrev_b32_e32 v24, 8, v1
	v_bfe_u32 v25, v1, 20, 11
	v_add_nc_u32_e32 v13, 0xfffffc10, v13
	v_lshrrev_b32_e32 v23, v20, v14
	s_wait_alu 0xf1ff
	v_cndmask_b32_e64 v2, 0, 1, s0
	v_cmp_gt_i32_e64 s0, 31, v22
	v_lshrrev_b32_e32 v6, 16, v6
	v_lshrrev_b32_e32 v1, 16, v1
	v_lshlrev_b32_e32 v20, v20, v23
	v_lshl_or_b32 v2, v2, 9, 0x7c00
	s_wait_alu 0xf1ff
	v_cndmask_b32_e64 v11, 0x7c00, v11, s0
	v_cmp_ne_u32_e64 s0, 0, v0
	s_wait_alu 0xf1ff
	s_delay_alu instid0(VALU_DEP_1) | instskip(SKIP_3) | instid1(VALU_DEP_4)
	v_cndmask_b32_e64 v0, 0, 1, s0
	v_cmp_ne_u32_e64 s0, v20, v14
	v_sub_nc_u32_e32 v20, 0x3f1, v25
	v_and_or_b32 v7, 0x1ff, v8, v7
	v_and_or_b32 v0, 0xffe, v24, v0
	s_wait_alu 0xf1ff
	v_cndmask_b32_e64 v14, 0, 1, s0
	v_cmp_eq_u32_e64 s0, 0x40f, v22
	v_med3_i32 v20, v20, 0, 13
	v_bfe_u32 v24, v8, 20, 11
	v_or_b32_e32 v22, 0x1000, v0
	s_wait_alu 0xf1ff
	v_cndmask_b32_e64 v2, v11, v2, s0
	v_or_b32_e32 v11, v23, v14
	v_lshl_or_b32 v14, v13, 12, v5
	v_cmp_gt_i32_e64 s0, 1, v13
	v_lshrrev_b32_e32 v23, 8, v8
	v_and_or_b32 v2, 0x8000, v3, v2
	s_wait_alu 0xf1ff
	s_delay_alu instid0(VALU_DEP_3) | instskip(SKIP_2) | instid1(VALU_DEP_3)
	v_cndmask_b32_e64 v11, v14, v11, s0
	v_lshrrev_b32_e32 v14, v20, v22
	v_cmp_ne_u32_e64 s0, 0, v7
	v_and_b32_e32 v26, 7, v11
	s_delay_alu instid0(VALU_DEP_3) | instskip(SKIP_1) | instid1(VALU_DEP_3)
	v_lshlrev_b32_e32 v20, v20, v14
	s_wait_alu 0xf1ff
	v_cndmask_b32_e64 v7, 0, 1, s0
	v_lshrrev_b32_e32 v11, 2, v11
	v_cmp_lt_i32_e64 s0, 5, v26
	v_cmp_ne_u32_e64 s1, v20, v22
	s_delay_alu instid0(VALU_DEP_4)
	v_and_or_b32 v3, 0xffe, v23, v7
	v_sub_nc_u32_e32 v7, 0x3f1, v24
	v_add_nc_u32_e32 v23, 0xfffffc10, v25
	s_wait_alu 0xf1ff
	v_cndmask_b32_e64 v20, 0, 1, s1
	v_cmp_eq_u32_e64 s1, 3, v26
	v_or_b32_e32 v22, 0x1000, v3
	v_med3_i32 v7, v7, 0, 13
	v_lshl_or_b32 v25, v23, 12, v0
	v_or_b32_e32 v14, v14, v20
	s_or_b32 s0, s1, s0
	s_wait_alu 0xfffe
	v_add_co_ci_u32_e64 v11, s0, 0, v11, s0
	v_lshrrev_b32_e32 v20, v7, v22
	v_cmp_gt_i32_e64 s0, 1, v23
	s_delay_alu instid0(VALU_DEP_2) | instskip(SKIP_1) | instid1(VALU_DEP_2)
	v_lshlrev_b32_e32 v7, v7, v20
	s_wait_alu 0xf1ff
	v_cndmask_b32_e64 v14, v25, v14, s0
	v_cmp_ne_u32_e64 s0, 0, v5
	s_wait_alu 0xf1ff
	s_delay_alu instid0(VALU_DEP_1) | instskip(SKIP_3) | instid1(VALU_DEP_4)
	v_cndmask_b32_e64 v5, 0, 1, s0
	v_cmp_ne_u32_e64 s0, v7, v22
	v_add_nc_u32_e32 v22, 0xfffffc10, v24
	v_and_b32_e32 v24, 7, v14
	v_lshl_or_b32 v5, v5, 9, 0x7c00
	s_wait_alu 0xf1ff
	v_cndmask_b32_e64 v7, 0, 1, s0
	v_cmp_gt_i32_e64 s0, 31, v13
	v_cmp_gt_i32_e64 s2, 1, v22
	v_cmp_eq_u32_e64 s1, 3, v24
	s_delay_alu instid0(VALU_DEP_4) | instskip(SKIP_4) | instid1(VALU_DEP_3)
	v_or_b32_e32 v7, v20, v7
	v_lshl_or_b32 v20, v22, 12, v3
	s_wait_alu 0xf1ff
	v_cndmask_b32_e64 v11, 0x7c00, v11, s0
	v_cmp_lt_i32_e64 s0, 5, v24
	v_cndmask_b32_e64 v7, v20, v7, s2
	v_cmp_eq_u32_e64 s2, 0x40f, v13
	s_delay_alu instid0(VALU_DEP_3) | instskip(NEXT) | instid1(VALU_DEP_2)
	s_or_b32 s0, s1, s0
	v_and_b32_e32 v13, 7, v7
	s_delay_alu instid0(VALU_DEP_2)
	v_cndmask_b32_e64 v5, v11, v5, s2
	v_lshrrev_b32_e32 v11, 2, v14
	v_lshrrev_b32_e32 v7, 2, v7
	v_cmp_gt_i32_e64 s2, 31, v23
	v_cmp_eq_u32_e64 s1, 3, v13
	v_and_or_b32 v5, 0x8000, v6, v5
	s_wait_alu 0xfffe
	v_add_co_ci_u32_e64 v11, s0, 0, v11, s0
	v_cmp_ne_u32_e64 s0, 0, v0
	v_and_b32_e32 v6, 0xffff, v2
	s_wait_alu 0xf1ff
	s_delay_alu instid0(VALU_DEP_3) | instskip(NEXT) | instid1(VALU_DEP_3)
	v_cndmask_b32_e64 v11, 0x7c00, v11, s2
	v_cndmask_b32_e64 v0, 0, 1, s0
	v_cmp_lt_i32_e64 s0, 5, v13
	s_delay_alu instid0(VALU_DEP_2) | instskip(NEXT) | instid1(VALU_DEP_2)
	v_lshl_or_b32 v0, v0, 9, 0x7c00
	s_or_b32 s0, s1, s0
	s_wait_alu 0xfffe
	v_add_co_ci_u32_e64 v7, s0, 0, v7, s0
	v_cmp_ne_u32_e64 s0, 0, v3
	s_wait_alu 0xf1ff
	s_delay_alu instid0(VALU_DEP_1) | instskip(SKIP_1) | instid1(VALU_DEP_2)
	v_cndmask_b32_e64 v3, 0, 1, s0
	v_cmp_eq_u32_e64 s0, 0x40f, v23
	v_lshl_or_b32 v3, v3, 9, 0x7c00
	s_wait_alu 0xf1ff
	s_delay_alu instid0(VALU_DEP_2) | instskip(SKIP_1) | instid1(VALU_DEP_2)
	v_cndmask_b32_e64 v0, v11, v0, s0
	v_cmp_gt_i32_e64 s0, 31, v22
	v_and_or_b32 v0, 0x8000, v1, v0
	s_wait_alu 0xf1ff
	s_delay_alu instid0(VALU_DEP_2) | instskip(SKIP_1) | instid1(VALU_DEP_3)
	v_cndmask_b32_e64 v7, 0x7c00, v7, s0
	v_cmp_eq_u32_e64 s0, 0x40f, v22
	v_and_b32_e32 v0, 0xffff, v0
	s_wait_alu 0xf1ff
	s_delay_alu instid0(VALU_DEP_2)
	v_cndmask_b32_e64 v1, v7, v3, s0
	v_lshrrev_b32_e32 v7, 16, v8
	v_add_co_u32 v2, s0, v18, s4
	s_wait_alu 0xf1ff
	v_add_co_ci_u32_e64 v3, s0, s5, v19, s0
	v_lshl_or_b32 v8, v5, 16, v6
	v_and_or_b32 v1, 0x8000, v7, v1
	v_add_co_u32 v5, s0, v2, s12
	s_wait_alu 0xf1ff
	v_add_co_ci_u32_e64 v6, s0, s13, v3, s0
	s_delay_alu instid0(VALU_DEP_3) | instskip(NEXT) | instid1(VALU_DEP_3)
	v_lshl_or_b32 v7, v1, 16, v0
	v_add_co_u32 v0, s0, v5, s12
	s_wait_alu 0xf1ff
	s_delay_alu instid0(VALU_DEP_3)
	v_add_co_ci_u32_e64 v1, s0, s13, v6, s0
	global_store_b32 v[9:10], v15, off
	global_store_b32 v[18:19], v21, off
	;; [unrolled: 1-line block ×5, first 2 shown]
	s_and_b32 exec_lo, exec_lo, vcc_lo
	s_cbranch_execz .LBB0_31
; %bb.30:
	s_clause 0x2
	global_load_b32 v5, v[16:17], off offset:648
	global_load_b32 v6, v[16:17], off offset:1368
	;; [unrolled: 1-line block ×3, first 2 shown]
	ds_load_2addr_b32 v[2:3], v4 offset0:34 offset1:214
	ds_load_b32 v7, v40 offset:2088
	v_add_co_u32 v0, vcc_lo, v0, s4
	s_wait_alu 0xfffd
	v_add_co_ci_u32_e32 v1, vcc_lo, s5, v1, vcc_lo
	s_wait_dscnt 0x1
	v_lshrrev_b32_e32 v4, 16, v2
	v_lshrrev_b32_e32 v11, 16, v3
	s_wait_dscnt 0x0
	v_lshrrev_b32_e32 v13, 16, v7
	s_wait_loadcnt 0x2
	v_lshrrev_b32_e32 v9, 16, v5
	s_wait_loadcnt 0x1
	v_lshrrev_b32_e32 v12, 16, v6
	s_delay_alu instid0(VALU_DEP_2) | instskip(SKIP_1) | instid1(VALU_DEP_3)
	v_mul_f16_e32 v10, v4, v9
	v_mul_f16_e32 v9, v2, v9
	;; [unrolled: 1-line block ×3, first 2 shown]
	s_delay_alu instid0(VALU_DEP_3) | instskip(NEXT) | instid1(VALU_DEP_3)
	v_fmac_f16_e32 v10, v2, v5
	v_fma_f16 v2, v5, v4, -v9
	s_wait_loadcnt 0x0
	v_lshrrev_b32_e32 v9, 16, v8
	v_mul_f16_e32 v5, v3, v12
	v_fmac_f16_e32 v14, v3, v6
	v_cvt_f32_f16_e32 v4, v10
	v_cvt_f32_f16_e32 v10, v2
	v_mul_f16_e32 v12, v13, v9
	v_fma_f16 v6, v6, v11, -v5
	v_cvt_f32_f16_e32 v11, v14
	v_cvt_f64_f32_e32 v[2:3], v4
	v_cvt_f64_f32_e32 v[4:5], v10
	v_mul_f16_e32 v9, v7, v9
	v_fmac_f16_e32 v12, v7, v8
	v_cvt_f32_f16_e32 v10, v6
	v_cvt_f64_f32_e32 v[6:7], v11
	v_add_co_u32 v14, vcc_lo, v0, s12
	v_fma_f16 v11, v8, v13, -v9
	v_cvt_f32_f16_e32 v12, v12
	v_cvt_f64_f32_e32 v[8:9], v10
	s_wait_alu 0xfffd
	v_add_co_ci_u32_e32 v15, vcc_lo, s13, v1, vcc_lo
	v_cvt_f32_f16_e32 v13, v11
	v_cvt_f64_f32_e32 v[10:11], v12
	s_delay_alu instid0(VALU_DEP_2)
	v_cvt_f64_f32_e32 v[12:13], v13
	v_mul_f64_e32 v[2:3], s[10:11], v[2:3]
	v_mul_f64_e32 v[4:5], s[10:11], v[4:5]
	;; [unrolled: 1-line block ×6, first 2 shown]
	v_and_or_b32 v2, 0x1ff, v3, v2
	v_and_or_b32 v4, 0x1ff, v5, v4
	v_lshrrev_b32_e32 v16, 8, v3
	v_bfe_u32 v17, v3, 20, 11
	v_lshrrev_b32_e32 v18, 8, v5
	v_cmp_ne_u32_e32 vcc_lo, 0, v2
	v_and_or_b32 v6, 0x1ff, v7, v6
	v_bfe_u32 v19, v5, 20, 11
	v_lshrrev_b32_e32 v20, 8, v7
	v_bfe_u32 v21, v7, 20, 11
	s_wait_alu 0xfffd
	v_cndmask_b32_e64 v2, 0, 1, vcc_lo
	v_cmp_ne_u32_e32 vcc_lo, 0, v4
	v_and_or_b32 v8, 0x1ff, v9, v8
	v_bfe_u32 v23, v9, 20, 11
	v_and_or_b32 v10, 0x1ff, v11, v10
	v_and_or_b32 v2, 0xffe, v16, v2
	s_wait_alu 0xfffd
	v_cndmask_b32_e64 v4, 0, 1, vcc_lo
	v_cmp_ne_u32_e32 vcc_lo, 0, v6
	v_and_or_b32 v12, 0x1ff, v13, v12
	v_sub_nc_u32_e32 v28, 0x3f1, v17
	v_add_nc_u32_e32 v17, 0xfffffc10, v17
	v_sub_nc_u32_e32 v29, 0x3f1, v19
	s_wait_alu 0xfffd
	v_cndmask_b32_e64 v6, 0, 1, vcc_lo
	v_cmp_ne_u32_e32 vcc_lo, 0, v8
	v_and_or_b32 v4, 0xffe, v18, v4
	v_lshrrev_b32_e32 v22, 8, v9
	v_bfe_u32 v25, v11, 20, 11
	v_bfe_u32 v27, v13, 20, 11
	s_wait_alu 0xfffd
	v_cndmask_b32_e64 v8, 0, 1, vcc_lo
	v_cmp_ne_u32_e32 vcc_lo, 0, v10
	v_add_nc_u32_e32 v19, 0xfffffc10, v19
	v_sub_nc_u32_e32 v30, 0x3f1, v21
	v_sub_nc_u32_e32 v31, 0x3f1, v23
	v_med3_i32 v16, v28, 0, 13
	s_wait_alu 0xfffd
	v_cndmask_b32_e64 v10, 0, 1, vcc_lo
	v_cmp_ne_u32_e32 vcc_lo, 0, v12
	v_med3_i32 v18, v29, 0, 13
	v_and_or_b32 v6, 0xffe, v20, v6
	v_or_b32_e32 v28, 0x1000, v2
	v_lshl_or_b32 v29, v17, 12, v2
	s_wait_alu 0xfffd
	v_cndmask_b32_e64 v12, 0, 1, vcc_lo
	v_cmp_ne_u32_e32 vcc_lo, 0, v2
	v_lshrrev_b32_e32 v24, 8, v11
	v_lshrrev_b32_e32 v26, 8, v13
	v_add_nc_u32_e32 v21, 0xfffffc10, v21
	v_sub_nc_u32_e32 v32, 0x3f1, v25
	s_wait_alu 0xfffd
	v_cndmask_b32_e64 v2, 0, 1, vcc_lo
	v_cmp_ne_u32_e32 vcc_lo, 0, v4
	v_sub_nc_u32_e32 v33, 0x3f1, v27
	v_med3_i32 v20, v30, 0, 13
	v_and_or_b32 v8, 0xffe, v22, v8
	v_med3_i32 v22, v31, 0, 13
	v_or_b32_e32 v30, 0x1000, v4
	v_lshl_or_b32 v31, v19, 12, v4
	s_wait_alu 0xfffd
	v_cndmask_b32_e64 v4, 0, 1, vcc_lo
	v_cmp_ne_u32_e32 vcc_lo, 0, v6
	v_add_nc_u32_e32 v23, 0xfffffc10, v23
	v_and_or_b32 v10, 0xffe, v24, v10
	v_med3_i32 v24, v32, 0, 13
	v_and_or_b32 v12, 0xffe, v26, v12
	v_med3_i32 v26, v33, 0, 13
	v_or_b32_e32 v32, 0x1000, v6
	v_lshl_or_b32 v33, v21, 12, v6
	s_wait_alu 0xfffd
	v_cndmask_b32_e64 v6, 0, 1, vcc_lo
	v_cmp_ne_u32_e32 vcc_lo, 0, v8
	v_add_nc_u32_e32 v25, 0xfffffc10, v25
	v_or_b32_e32 v34, 0x1000, v8
	v_lshl_or_b32 v35, v23, 12, v8
	v_lshrrev_b32_e32 v40, v16, v28
	s_wait_alu 0xfffd
	v_cndmask_b32_e64 v8, 0, 1, vcc_lo
	v_cmp_ne_u32_e32 vcc_lo, 0, v10
	v_add_nc_u32_e32 v27, 0xfffffc10, v27
	v_or_b32_e32 v36, 0x1000, v10
	v_lshl_or_b32 v37, v25, 12, v10
	v_lshrrev_b32_e32 v41, v18, v30
	s_wait_alu 0xfffd
	v_cndmask_b32_e64 v10, 0, 1, vcc_lo
	v_cmp_ne_u32_e32 vcc_lo, 0, v12
	v_lshlrev_b32_e32 v16, v16, v40
	v_or_b32_e32 v38, 0x1000, v12
	v_lshl_or_b32 v39, v27, 12, v12
	v_lshrrev_b32_e32 v42, v20, v32
	s_wait_alu 0xfffd
	v_cndmask_b32_e64 v12, 0, 1, vcc_lo
	v_lshlrev_b32_e32 v18, v18, v41
	v_cmp_ne_u32_e32 vcc_lo, v16, v28
	v_lshrrev_b32_e32 v43, v22, v34
	v_lshlrev_b32_e32 v20, v20, v42
	v_lshrrev_b32_e32 v44, v24, v36
	v_lshrrev_b32_e32 v45, v26, v38
	s_wait_alu 0xfffd
	v_cndmask_b32_e64 v16, 0, 1, vcc_lo
	v_cmp_ne_u32_e32 vcc_lo, v18, v30
	v_lshlrev_b32_e32 v22, v22, v43
	v_lshlrev_b32_e32 v24, v24, v44
	;; [unrolled: 1-line block ×3, first 2 shown]
	v_or_b32_e32 v16, v40, v16
	s_wait_alu 0xfffd
	v_cndmask_b32_e64 v18, 0, 1, vcc_lo
	v_cmp_ne_u32_e32 vcc_lo, v20, v32
	v_lshl_or_b32 v2, v2, 9, 0x7c00
	v_lshl_or_b32 v4, v4, 9, 0x7c00
	;; [unrolled: 1-line block ×3, first 2 shown]
	v_or_b32_e32 v18, v41, v18
	s_wait_alu 0xfffd
	v_cndmask_b32_e64 v20, 0, 1, vcc_lo
	v_cmp_ne_u32_e32 vcc_lo, v22, v34
	v_lshl_or_b32 v8, v8, 9, 0x7c00
	v_lshl_or_b32 v10, v10, 9, 0x7c00
	v_lshrrev_b32_e32 v3, 16, v3
	v_or_b32_e32 v20, v42, v20
	s_wait_alu 0xfffd
	v_cndmask_b32_e64 v22, 0, 1, vcc_lo
	v_cmp_ne_u32_e32 vcc_lo, v24, v36
	v_lshrrev_b32_e32 v7, 16, v7
	v_lshrrev_b32_e32 v5, 16, v5
	;; [unrolled: 1-line block ×3, first 2 shown]
	v_or_b32_e32 v22, v43, v22
	s_wait_alu 0xfffd
	v_cndmask_b32_e64 v24, 0, 1, vcc_lo
	v_cmp_ne_u32_e32 vcc_lo, v26, v38
	v_lshl_or_b32 v12, v12, 9, 0x7c00
	v_lshrrev_b32_e32 v9, 16, v9
	v_lshrrev_b32_e32 v13, 16, v13
	v_or_b32_e32 v24, v44, v24
	s_wait_alu 0xfffd
	v_cndmask_b32_e64 v26, 0, 1, vcc_lo
	v_cmp_gt_i32_e32 vcc_lo, 1, v17
	s_delay_alu instid0(VALU_DEP_2) | instskip(SKIP_3) | instid1(VALU_DEP_2)
	v_or_b32_e32 v26, v45, v26
	s_wait_alu 0xfffd
	v_cndmask_b32_e32 v16, v29, v16, vcc_lo
	v_cmp_gt_i32_e32 vcc_lo, 1, v19
	v_and_b32_e32 v28, 7, v16
	s_wait_alu 0xfffd
	v_cndmask_b32_e32 v18, v31, v18, vcc_lo
	v_cmp_gt_i32_e32 vcc_lo, 1, v21
	v_lshrrev_b32_e32 v16, 2, v16
	v_cmp_eq_u32_e64 s0, 3, v28
	s_wait_alu 0xfffd
	v_cndmask_b32_e32 v20, v33, v20, vcc_lo
	v_cmp_gt_i32_e32 vcc_lo, 1, v23
	s_delay_alu instid0(VALU_DEP_2)
	v_and_b32_e32 v30, 7, v20
	s_wait_alu 0xfffd
	v_cndmask_b32_e32 v22, v35, v22, vcc_lo
	v_cmp_gt_i32_e32 vcc_lo, 1, v25
	v_lshrrev_b32_e32 v20, 2, v20
	v_cmp_lt_i32_e64 s3, 5, v30
	v_cmp_eq_u32_e64 s4, 3, v30
	s_wait_alu 0xfffd
	v_cndmask_b32_e32 v24, v37, v24, vcc_lo
	v_cmp_gt_i32_e32 vcc_lo, 1, v27
	s_delay_alu instid0(VALU_DEP_2)
	v_and_b32_e32 v32, 7, v24
	s_wait_alu 0xfffd
	v_cndmask_b32_e32 v26, v39, v26, vcc_lo
	v_cmp_lt_i32_e32 vcc_lo, 5, v28
	v_lshrrev_b32_e32 v24, 2, v24
	v_cmp_lt_i32_e64 s7, 5, v32
	v_cmp_eq_u32_e64 s8, 3, v32
	s_or_b32 vcc_lo, s0, vcc_lo
	s_wait_alu 0xfffe
	v_add_co_ci_u32_e32 v16, vcc_lo, 0, v16, vcc_lo
	v_and_b32_e32 v29, 7, v18
	v_lshrrev_b32_e32 v18, 2, v18
	s_delay_alu instid0(VALU_DEP_2) | instskip(SKIP_1) | instid1(VALU_DEP_1)
	v_cmp_lt_i32_e64 s1, 5, v29
	v_cmp_eq_u32_e64 s2, 3, v29
	s_or_b32 vcc_lo, s2, s1
	s_wait_alu 0xfffe
	v_add_co_ci_u32_e32 v18, vcc_lo, 0, v18, vcc_lo
	s_or_b32 vcc_lo, s4, s3
	s_wait_alu 0xfffe
	v_add_co_ci_u32_e32 v20, vcc_lo, 0, v20, vcc_lo
	v_and_b32_e32 v31, 7, v22
	v_lshrrev_b32_e32 v22, 2, v22
	s_delay_alu instid0(VALU_DEP_2) | instskip(SKIP_1) | instid1(VALU_DEP_1)
	v_cmp_lt_i32_e64 s5, 5, v31
	v_cmp_eq_u32_e64 s6, 3, v31
	s_or_b32 vcc_lo, s6, s5
	s_wait_alu 0xfffe
	v_add_co_ci_u32_e32 v22, vcc_lo, 0, v22, vcc_lo
	s_or_b32 vcc_lo, s8, s7
	s_wait_alu 0xfffe
	v_add_co_ci_u32_e32 v24, vcc_lo, 0, v24, vcc_lo
	v_and_b32_e32 v33, 7, v26
	v_lshrrev_b32_e32 v26, 2, v26
	s_delay_alu instid0(VALU_DEP_2) | instskip(SKIP_1) | instid1(VALU_DEP_1)
	v_cmp_lt_i32_e64 s9, 5, v33
	v_cmp_eq_u32_e64 s10, 3, v33
	s_or_b32 vcc_lo, s10, s9
	s_wait_alu 0xfffe
	v_add_co_ci_u32_e32 v26, vcc_lo, 0, v26, vcc_lo
	v_cmp_gt_i32_e32 vcc_lo, 31, v17
	s_wait_alu 0xfffd
	v_cndmask_b32_e32 v16, 0x7c00, v16, vcc_lo
	v_cmp_gt_i32_e32 vcc_lo, 31, v19
	s_wait_alu 0xfffd
	v_cndmask_b32_e32 v18, 0x7c00, v18, vcc_lo
	;; [unrolled: 3-line block ×6, first 2 shown]
	v_cmp_eq_u32_e32 vcc_lo, 0x40f, v17
	s_wait_alu 0xfffd
	v_cndmask_b32_e32 v2, v16, v2, vcc_lo
	v_cmp_eq_u32_e32 vcc_lo, 0x40f, v19
	s_delay_alu instid0(VALU_DEP_2) | instskip(SKIP_3) | instid1(VALU_DEP_2)
	v_and_or_b32 v2, 0x8000, v3, v2
	s_wait_alu 0xfffd
	v_cndmask_b32_e32 v4, v18, v4, vcc_lo
	v_cmp_eq_u32_e32 vcc_lo, 0x40f, v21
	v_and_or_b32 v4, 0x8000, v5, v4
	s_wait_alu 0xfffd
	v_cndmask_b32_e32 v6, v20, v6, vcc_lo
	v_cmp_eq_u32_e32 vcc_lo, 0x40f, v23
	s_delay_alu instid0(VALU_DEP_2) | instskip(SKIP_3) | instid1(VALU_DEP_2)
	v_and_or_b32 v3, 0x8000, v7, v6
	s_wait_alu 0xfffd
	v_cndmask_b32_e32 v8, v22, v8, vcc_lo
	v_cmp_eq_u32_e32 vcc_lo, 0x40f, v25
	v_and_or_b32 v6, 0x8000, v9, v8
	s_wait_alu 0xfffd
	v_cndmask_b32_e32 v10, v24, v10, vcc_lo
	v_cmp_eq_u32_e32 vcc_lo, 0x40f, v27
	v_and_b32_e32 v8, 0xffff, v2
	v_and_b32_e32 v9, 0xffff, v3
	s_delay_alu instid0(VALU_DEP_4)
	v_and_or_b32 v5, 0x8000, v11, v10
	s_wait_alu 0xfffd
	v_cndmask_b32_e32 v12, v26, v12, vcc_lo
	v_add_co_u32 v2, vcc_lo, v14, s12
	v_lshl_or_b32 v4, v4, 16, v8
	v_and_b32_e32 v5, 0xffff, v5
	s_delay_alu instid0(VALU_DEP_4) | instskip(SKIP_3) | instid1(VALU_DEP_3)
	v_and_or_b32 v7, 0x8000, v13, v12
	v_lshl_or_b32 v6, v6, 16, v9
	s_wait_alu 0xfffd
	v_add_co_ci_u32_e32 v3, vcc_lo, s13, v15, vcc_lo
	v_lshl_or_b32 v5, v7, 16, v5
	global_store_b32 v[0:1], v4, off
	global_store_b32 v[14:15], v6, off
	global_store_b32 v[2:3], v5, off
.LBB0_31:
	s_nop 0
	s_sendmsg sendmsg(MSG_DEALLOC_VGPRS)
	s_endpgm
	.section	.rodata,"a",@progbits
	.p2align	6, 0x0
	.amdhsa_kernel bluestein_single_back_len540_dim1_half_op_CI_CI
		.amdhsa_group_segment_fixed_size 8640
		.amdhsa_private_segment_fixed_size 0
		.amdhsa_kernarg_size 104
		.amdhsa_user_sgpr_count 2
		.amdhsa_user_sgpr_dispatch_ptr 0
		.amdhsa_user_sgpr_queue_ptr 0
		.amdhsa_user_sgpr_kernarg_segment_ptr 1
		.amdhsa_user_sgpr_dispatch_id 0
		.amdhsa_user_sgpr_private_segment_size 0
		.amdhsa_wavefront_size32 1
		.amdhsa_uses_dynamic_stack 0
		.amdhsa_enable_private_segment 0
		.amdhsa_system_sgpr_workgroup_id_x 1
		.amdhsa_system_sgpr_workgroup_id_y 0
		.amdhsa_system_sgpr_workgroup_id_z 0
		.amdhsa_system_sgpr_workgroup_info 0
		.amdhsa_system_vgpr_workitem_id 0
		.amdhsa_next_free_vgpr 141
		.amdhsa_next_free_sgpr 18
		.amdhsa_reserve_vcc 1
		.amdhsa_float_round_mode_32 0
		.amdhsa_float_round_mode_16_64 0
		.amdhsa_float_denorm_mode_32 3
		.amdhsa_float_denorm_mode_16_64 3
		.amdhsa_fp16_overflow 0
		.amdhsa_workgroup_processor_mode 1
		.amdhsa_memory_ordered 1
		.amdhsa_forward_progress 0
		.amdhsa_round_robin_scheduling 0
		.amdhsa_exception_fp_ieee_invalid_op 0
		.amdhsa_exception_fp_denorm_src 0
		.amdhsa_exception_fp_ieee_div_zero 0
		.amdhsa_exception_fp_ieee_overflow 0
		.amdhsa_exception_fp_ieee_underflow 0
		.amdhsa_exception_fp_ieee_inexact 0
		.amdhsa_exception_int_div_zero 0
	.end_amdhsa_kernel
	.text
.Lfunc_end0:
	.size	bluestein_single_back_len540_dim1_half_op_CI_CI, .Lfunc_end0-bluestein_single_back_len540_dim1_half_op_CI_CI
                                        ; -- End function
	.section	.AMDGPU.csdata,"",@progbits
; Kernel info:
; codeLenInByte = 19336
; NumSgprs: 20
; NumVgprs: 141
; ScratchSize: 0
; MemoryBound: 0
; FloatMode: 240
; IeeeMode: 1
; LDSByteSize: 8640 bytes/workgroup (compile time only)
; SGPRBlocks: 2
; VGPRBlocks: 17
; NumSGPRsForWavesPerEU: 20
; NumVGPRsForWavesPerEU: 141
; Occupancy: 10
; WaveLimiterHint : 1
; COMPUTE_PGM_RSRC2:SCRATCH_EN: 0
; COMPUTE_PGM_RSRC2:USER_SGPR: 2
; COMPUTE_PGM_RSRC2:TRAP_HANDLER: 0
; COMPUTE_PGM_RSRC2:TGID_X_EN: 1
; COMPUTE_PGM_RSRC2:TGID_Y_EN: 0
; COMPUTE_PGM_RSRC2:TGID_Z_EN: 0
; COMPUTE_PGM_RSRC2:TIDIG_COMP_CNT: 0
	.text
	.p2alignl 7, 3214868480
	.fill 96, 4, 3214868480
	.type	__hip_cuid_b03cdf40b2503a6f,@object ; @__hip_cuid_b03cdf40b2503a6f
	.section	.bss,"aw",@nobits
	.globl	__hip_cuid_b03cdf40b2503a6f
__hip_cuid_b03cdf40b2503a6f:
	.byte	0                               ; 0x0
	.size	__hip_cuid_b03cdf40b2503a6f, 1

	.ident	"AMD clang version 19.0.0git (https://github.com/RadeonOpenCompute/llvm-project roc-6.4.0 25133 c7fe45cf4b819c5991fe208aaa96edf142730f1d)"
	.section	".note.GNU-stack","",@progbits
	.addrsig
	.addrsig_sym __hip_cuid_b03cdf40b2503a6f
	.amdgpu_metadata
---
amdhsa.kernels:
  - .args:
      - .actual_access:  read_only
        .address_space:  global
        .offset:         0
        .size:           8
        .value_kind:     global_buffer
      - .actual_access:  read_only
        .address_space:  global
        .offset:         8
        .size:           8
        .value_kind:     global_buffer
      - .actual_access:  read_only
        .address_space:  global
        .offset:         16
        .size:           8
        .value_kind:     global_buffer
      - .actual_access:  read_only
        .address_space:  global
        .offset:         24
        .size:           8
        .value_kind:     global_buffer
      - .actual_access:  read_only
        .address_space:  global
        .offset:         32
        .size:           8
        .value_kind:     global_buffer
      - .offset:         40
        .size:           8
        .value_kind:     by_value
      - .address_space:  global
        .offset:         48
        .size:           8
        .value_kind:     global_buffer
      - .address_space:  global
        .offset:         56
        .size:           8
        .value_kind:     global_buffer
      - .address_space:  global
        .offset:         64
        .size:           8
        .value_kind:     global_buffer
      - .address_space:  global
        .offset:         72
        .size:           8
        .value_kind:     global_buffer
      - .offset:         80
        .size:           4
        .value_kind:     by_value
      - .address_space:  global
        .offset:         88
        .size:           8
        .value_kind:     global_buffer
      - .address_space:  global
        .offset:         96
        .size:           8
        .value_kind:     global_buffer
    .group_segment_fixed_size: 8640
    .kernarg_segment_align: 8
    .kernarg_segment_size: 104
    .language:       OpenCL C
    .language_version:
      - 2
      - 0
    .max_flat_workgroup_size: 216
    .name:           bluestein_single_back_len540_dim1_half_op_CI_CI
    .private_segment_fixed_size: 0
    .sgpr_count:     20
    .sgpr_spill_count: 0
    .symbol:         bluestein_single_back_len540_dim1_half_op_CI_CI.kd
    .uniform_work_group_size: 1
    .uses_dynamic_stack: false
    .vgpr_count:     141
    .vgpr_spill_count: 0
    .wavefront_size: 32
    .workgroup_processor_mode: 1
amdhsa.target:   amdgcn-amd-amdhsa--gfx1201
amdhsa.version:
  - 1
  - 2
...

	.end_amdgpu_metadata
